;; amdgpu-corpus repo=vllm-project/vllm kind=compiled arch=gfx1100 opt=O3
	.text
	.amdgcn_target "amdgcn-amd-amdhsa--gfx1100"
	.amdhsa_code_object_version 6
	.section	.text._ZN4vllm15gptq_rdna3_wmma28gemm_q4_wmma_kernel_16x16_1wI6__halfEEvPKT_PKjS7_S5_PS3_iiiiiPKi,"axG",@progbits,_ZN4vllm15gptq_rdna3_wmma28gemm_q4_wmma_kernel_16x16_1wI6__halfEEvPKT_PKjS7_S5_PS3_iiiiiPKi,comdat
	.protected	_ZN4vllm15gptq_rdna3_wmma28gemm_q4_wmma_kernel_16x16_1wI6__halfEEvPKT_PKjS7_S5_PS3_iiiiiPKi ; -- Begin function _ZN4vllm15gptq_rdna3_wmma28gemm_q4_wmma_kernel_16x16_1wI6__halfEEvPKT_PKjS7_S5_PS3_iiiiiPKi
	.globl	_ZN4vllm15gptq_rdna3_wmma28gemm_q4_wmma_kernel_16x16_1wI6__halfEEvPKT_PKjS7_S5_PS3_iiiiiPKi
	.p2align	8
	.type	_ZN4vllm15gptq_rdna3_wmma28gemm_q4_wmma_kernel_16x16_1wI6__halfEEvPKT_PKjS7_S5_PS3_iiiiiPKi,@function
_ZN4vllm15gptq_rdna3_wmma28gemm_q4_wmma_kernel_16x16_1wI6__halfEEvPKT_PKjS7_S5_PS3_iiiiiPKi: ; @_ZN4vllm15gptq_rdna3_wmma28gemm_q4_wmma_kernel_16x16_1wI6__halfEEvPKT_PKjS7_S5_PS3_iiiiiPKi
; %bb.0:
	s_load_b128 s[28:31], s[0:1], 0x28
	s_lshl_b32 s3, s14, 4
	s_lshl_b32 s6, s13, 4
	s_waitcnt lgkmcnt(0)
	s_cmp_ge_i32 s3, s28
	s_cselect_b32 s2, -1, 0
	s_cmp_ge_i32 s6, s29
	s_cselect_b32 s4, -1, 0
	s_delay_alu instid0(SALU_CYCLE_1) | instskip(NEXT) | instid1(SALU_CYCLE_1)
	s_or_b32 s2, s2, s4
	s_and_b32 vcc_lo, exec_lo, s2
	s_cbranch_vccnz .LBB0_62
; %bb.1:
	s_load_b32 s33, s[0:1], 0x50
	s_abs_i32 s7, s31
	s_clause 0x1
	s_load_b64 s[34:35], s[0:1], 0x20
	s_load_b32 s38, s[0:1], 0x38
	v_cvt_f32_u32_e32 v2, s7
	v_lshrrev_b32_e32 v21, 4, v0
	v_dual_mov_b32 v8, 0 :: v_dual_and_b32 v9, 15, v0
	s_delay_alu instid0(VALU_DEP_1) | instskip(NEXT) | instid1(VALU_DEP_2)
	v_mov_b32_e32 v6, v8
	v_or_b32_e32 v17, s6, v9
	v_mov_b32_e32 v7, v8
	v_mov_b32_e32 v5, v8
	v_mov_b32_e32 v3, v8
	s_waitcnt lgkmcnt(0)
	v_cvt_f32_u32_e32 v1, s33
	s_sub_i32 s4, 0, s33
	s_delay_alu instid0(VALU_DEP_1) | instskip(SKIP_2) | instid1(VALU_DEP_1)
	v_rcp_iflag_f32_e32 v1, v1
	s_waitcnt_depctr 0xfff
	v_mul_f32_e32 v1, 0x4f7ffffe, v1
	v_cvt_u32_f32_e32 v1, v1
	s_delay_alu instid0(VALU_DEP_1) | instskip(SKIP_3) | instid1(VALU_DEP_3)
	v_readfirstlane_b32 s2, v1
	v_rcp_iflag_f32_e32 v1, v2
	v_mov_b32_e32 v4, v8
	v_mov_b32_e32 v2, v8
	s_mul_i32 s4, s4, s2
	s_delay_alu instid0(SALU_CYCLE_1) | instskip(NEXT) | instid1(SALU_CYCLE_1)
	s_mul_hi_u32 s4, s2, s4
	s_add_i32 s2, s2, s4
	s_waitcnt_depctr 0xfff
	v_mul_f32_e32 v1, 0x4f7ffffe, v1
	s_mul_hi_u32 s4, s30, s2
	v_cmp_gt_i32_e64 s2, s29, v17
	s_mul_i32 s5, s4, s33
	s_add_i32 s8, s4, 1
	s_sub_i32 s5, s30, s5
	v_cvt_u32_f32_e32 v1, v1
	s_sub_i32 s9, s5, s33
	s_cmp_ge_u32 s5, s33
	s_cselect_b32 s4, s8, s4
	s_cselect_b32 s5, s9, s5
	s_add_i32 s8, s4, 1
	s_cmp_ge_u32 s5, s33
	v_readfirstlane_b32 s9, v1
	v_mov_b32_e32 v1, v8
	s_cselect_b32 s8, s8, s4
	s_delay_alu instid0(SALU_CYCLE_1)
	s_cmp_lt_i32 s8, 1
	s_cbranch_scc1 .LBB0_11
; %bb.2:
	s_sub_i32 s4, 0, s7
	s_abs_i32 s11, s30
	s_mul_i32 s10, s4, s9
	s_load_b64 s[4:5], s[0:1], 0x40
	s_mul_hi_u32 s10, s9, s10
	s_ashr_i32 s12, s31, 31
	s_add_i32 s9, s9, s10
	s_ashr_i32 s10, s30, 31
	s_mul_hi_u32 s9, s11, s9
	s_xor_b32 s10, s10, s12
	s_mul_i32 s13, s9, s7
	s_add_i32 s12, s9, 1
	s_sub_i32 s11, s11, s13
	s_mul_i32 s36, s8, s15
	s_sub_i32 s13, s11, s7
	s_cmp_ge_u32 s11, s7
	v_or_b32_e32 v6, s3, v9
	s_cselect_b32 s9, s12, s9
	s_cselect_b32 s11, s13, s11
	s_add_i32 s12, s9, 1
	s_cmp_ge_u32 s11, s7
	s_load_b256 s[20:27], s[0:1], 0x0
	s_cselect_b32 s7, s12, s9
	s_add_i32 s31, s36, s8
	s_ashr_i32 s8, s29, 31
	s_ashr_i32 s6, s6, 31
	s_lshr_b32 s8, s8, 29
	s_xor_b32 s7, s7, s10
	s_add_i32 s8, s29, s8
	s_sub_i32 s7, s7, s10
	s_ashr_i32 s39, s8, 3
	s_lshr_b32 s6, s6, 29
	s_waitcnt lgkmcnt(0)
	s_cmp_lg_u64 s[4:5], 0
	v_mul_lo_u32 v2, v6, s30
	s_cselect_b32 s40, -1, 0
	s_abs_i32 s41, s7
	v_lshlrev_b32_e32 v22, 1, v9
	v_cvt_f32_u32_e32 v1, s41
	v_cmp_gt_i32_e64 s0, s28, v6
	s_ashr_i32 s37, s36, 31
	s_ashr_i32 s1, s7, 31
	s_delay_alu instid0(VALU_DEP_2)
	v_rcp_iflag_f32_e32 v1, v1
	s_waitcnt_depctr 0xfff
	v_mul_f32_e32 v7, 0x4f7ffffe, v1
	v_mov_b32_e32 v1, 0
	v_add_nc_u32_e32 v3, s3, v9
	v_lshlrev_b32_e32 v5, 2, v0
	v_lshl_or_b32 v24, v21, 8, v22
	s_delay_alu instid0(VALU_DEP_4) | instskip(NEXT) | instid1(VALU_DEP_4)
	v_mov_b32_e32 v6, v1
	v_mul_lo_u32 v4, s30, v3
	v_ashrrev_i32_e32 v3, 31, v2
	v_cvt_u32_f32_e32 v7, v7
	v_dual_mov_b32 v8, v1 :: v_dual_and_b32 v23, 28, v5
	s_delay_alu instid0(VALU_DEP_3) | instskip(NEXT) | instid1(VALU_DEP_3)
	v_lshlrev_b64 v[2:3], 1, v[2:3]
	v_readfirstlane_b32 s8, v7
	v_ashrrev_i32_e32 v5, 31, v4
	v_mov_b32_e32 v7, v1
	s_delay_alu instid0(VALU_DEP_4)
	v_add_co_u32 v25, vcc_lo, s20, v2
	v_add_nc_u32_e32 v2, s6, v17
	s_sub_i32 s6, 0, s41
	v_lshlrev_b64 v[4:5], 1, v[4:5]
	s_mul_i32 s6, s6, s8
	v_add_co_ci_u32_e32 v26, vcc_lo, s21, v3, vcc_lo
	v_mov_b32_e32 v3, v1
	s_mul_hi_u32 s9, s8, s6
	s_lshl_b64 s[6:7], s[36:37], 2
	s_add_i32 s30, s8, s9
	s_add_u32 s4, s6, s4
	s_addc_u32 s5, s7, s5
	s_add_u32 s42, s4, 60
	s_addc_u32 s43, s5, 0
	s_lshl_b64 s[4:5], s[36:37], 1
	v_ashrrev_i32_e32 v18, 3, v2
	s_add_u32 s4, s20, s4
	s_addc_u32 s5, s21, s5
	v_add_co_u32 v19, vcc_lo, s4, v4
	v_add_co_ci_u32_e32 v20, vcc_lo, s5, v5, vcc_lo
	v_mov_b32_e32 v2, v1
	v_mov_b32_e32 v4, v1
	;; [unrolled: 1-line block ×3, first 2 shown]
	s_mov_b32 s20, 0xf000f
	s_branch .LBB0_4
.LBB0_3:                                ;   in Loop: Header=BB0_4 Depth=1
	s_or_b32 exec_lo, exec_lo, s21
	ds_load_u16 v27, v22
	ds_load_u16 v28, v22 offset:64
	ds_load_u16 v29, v22 offset:128
	;; [unrolled: 1-line block ×7, first 2 shown]
	v_add_co_u32 v19, vcc_lo, v19, 32
	s_add_i32 s36, s36, 16
	v_add_co_ci_u32_e32 v20, vcc_lo, 0, v20, vcc_lo
	s_add_u32 s42, s42, 64
	s_addc_u32 s43, s43, 0
	s_cmp_ge_i32 s36, s31
	s_waitcnt lgkmcnt(7)
	ds_load_u16_d16_hi v27, v22 offset:32
	s_waitcnt lgkmcnt(7)
	ds_load_u16_d16_hi v28, v22 offset:96
	s_waitcnt lgkmcnt(7)
	ds_load_u16_d16_hi v29, v22 offset:160
	s_waitcnt lgkmcnt(7)
	ds_load_u16_d16_hi v30, v22 offset:224
	s_waitcnt lgkmcnt(7)
	ds_load_u16_d16_hi v31, v22 offset:288
	s_waitcnt lgkmcnt(7)
	ds_load_u16_d16_hi v32, v22 offset:352
	s_waitcnt lgkmcnt(7)
	ds_load_u16_d16_hi v33, v22 offset:416
	s_waitcnt lgkmcnt(7)
	ds_load_u16_d16_hi v34, v22 offset:480
	s_waitcnt vmcnt(0) lgkmcnt(0)
	v_wmma_f32_16x16x16_f16 v[1:8], v[9:16], v[27:34], v[1:8]
	s_cbranch_scc1 .LBB0_11
.LBB0_4:                                ; =>This Inner Loop Header: Depth=1
	s_and_saveexec_b32 s4, s2
	s_cbranch_execz .LBB0_6
; %bb.5:                                ;   in Loop: Header=BB0_4 Depth=1
	s_abs_i32 s6, s36
	s_ashr_i32 s5, s36, 31
	s_mul_hi_u32 s8, s6, s30
	s_lshr_b32 s7, s5, 29
	s_mul_i32 s9, s8, s41
	s_add_i32 s7, s36, s7
	s_sub_i32 s6, s6, s9
	s_ashr_i32 s7, s7, 3
	s_xor_b32 s5, s5, s1
	s_add_i32 s9, s8, 1
	s_sub_i32 s10, s6, s41
	s_cmp_ge_u32 s6, s41
	v_add_nc_u32_e32 v13, s7, v21
	s_cselect_b32 s8, s9, s8
	s_cselect_b32 s6, s10, s6
	s_add_i32 s9, s8, 1
	s_cmp_ge_u32 s6, s41
	v_mad_u64_u32 v[11:12], null, v13, s29, v[17:18]
	s_cselect_b32 s6, s9, s8
	s_delay_alu instid0(SALU_CYCLE_1) | instskip(NEXT) | instid1(SALU_CYCLE_1)
	s_xor_b32 s6, s6, s5
	s_sub_i32 s5, s6, s5
	s_delay_alu instid0(SALU_CYCLE_1) | instskip(NEXT) | instid1(VALU_DEP_2)
	v_mad_u64_u32 v[9:10], null, s5, s39, v[18:19]
	v_ashrrev_i32_e32 v12, 31, v11
	v_mad_u64_u32 v[13:14], null, s5, s29, v[17:18]
	s_delay_alu instid0(VALU_DEP_2) | instskip(NEXT) | instid1(VALU_DEP_4)
	v_lshlrev_b64 v[11:12], 2, v[11:12]
	v_ashrrev_i32_e32 v10, 31, v9
	s_delay_alu instid0(VALU_DEP_3) | instskip(NEXT) | instid1(VALU_DEP_2)
	v_ashrrev_i32_e32 v14, 31, v13
	v_lshlrev_b64 v[9:10], 2, v[9:10]
	s_delay_alu instid0(VALU_DEP_1) | instskip(NEXT) | instid1(VALU_DEP_2)
	v_add_co_u32 v9, vcc_lo, s24, v9
	v_add_co_ci_u32_e32 v10, vcc_lo, s25, v10, vcc_lo
	global_load_b32 v15, v[9:10], off
	v_add_co_u32 v9, vcc_lo, s22, v11
	v_add_co_ci_u32_e32 v10, vcc_lo, s23, v12, vcc_lo
	global_load_b32 v11, v[9:10], off
	v_lshlrev_b64 v[9:10], 1, v[13:14]
	s_delay_alu instid0(VALU_DEP_1) | instskip(NEXT) | instid1(VALU_DEP_2)
	v_add_co_u32 v9, vcc_lo, s26, v9
	v_add_co_ci_u32_e32 v10, vcc_lo, s27, v10, vcc_lo
	global_load_u16 v9, v[9:10], off
	s_waitcnt vmcnt(2)
	v_bfe_u32 v10, v15, v23, 4
	s_delay_alu instid0(VALU_DEP_1)
	v_add_nc_u32_e32 v10, s38, v10
	s_waitcnt vmcnt(1)
	v_lshrrev_b32_e32 v13, 4, v11
	v_lshrrev_b32_e32 v14, 8, v11
	v_and_or_b32 v12, v11, s20, 0x64006400
	v_lshrrev_b32_e32 v11, 12, v11
	v_or_b32_e32 v10, 0x6400, v10
	v_and_or_b32 v13, v13, s20, 0x64006400
	v_and_or_b32 v14, v14, s20, 0x64006400
	s_delay_alu instid0(VALU_DEP_4) | instskip(NEXT) | instid1(VALU_DEP_4)
	v_and_or_b32 v11, v11, s20, 0x64006400
	v_pk_add_f16 v12, v12, v10 op_sel_hi:[1,0] neg_lo:[0,1] neg_hi:[0,1]
	s_delay_alu instid0(VALU_DEP_4) | instskip(NEXT) | instid1(VALU_DEP_4)
	v_pk_add_f16 v13, v13, v10 op_sel_hi:[1,0] neg_lo:[0,1] neg_hi:[0,1]
	v_pk_add_f16 v14, v14, v10 op_sel_hi:[1,0] neg_lo:[0,1] neg_hi:[0,1]
	s_delay_alu instid0(VALU_DEP_4)
	v_pk_add_f16 v10, v11, v10 op_sel_hi:[1,0] neg_lo:[0,1] neg_hi:[0,1]
	s_waitcnt vmcnt(0)
	v_pk_mul_f16 v11, v9, v12 op_sel_hi:[0,1]
	v_pk_mul_f16 v12, v9, v13 op_sel_hi:[0,1]
	;; [unrolled: 1-line block ×4, first 2 shown]
	ds_store_b16 v24, v11
	ds_store_b16_d16_hi v24, v11 offset:32
	ds_store_b16 v24, v12 offset:64
	ds_store_b16_d16_hi v24, v12 offset:96
	ds_store_b16 v24, v13 offset:128
	;; [unrolled: 2-line block ×3, first 2 shown]
	ds_store_b16_d16_hi v24, v9 offset:224
.LBB0_6:                                ;   in Loop: Header=BB0_4 Depth=1
	s_or_b32 exec_lo, exec_lo, s4
	v_dual_mov_b32 v9, 0 :: v_dual_mov_b32 v10, 0
	v_dual_mov_b32 v11, 0 :: v_dual_mov_b32 v12, 0
	;; [unrolled: 1-line block ×4, first 2 shown]
	s_and_saveexec_b32 s21, s0
	s_cbranch_execz .LBB0_3
; %bb.7:                                ;   in Loop: Header=BB0_4 Depth=1
	s_and_not1_b32 vcc_lo, exec_lo, s40
	s_cbranch_vccnz .LBB0_9
; %bb.8:                                ;   in Loop: Header=BB0_4 Depth=1
	s_add_u32 s4, s42, 0xffffffc4
	s_addc_u32 s5, s43, -1
	s_load_b512 s[4:19], s[4:5], 0x0
	s_waitcnt lgkmcnt(0)
	s_ashr_i32 s45, s4, 31
	s_mov_b32 s44, s4
	s_ashr_i32 s47, s6, 31
	s_lshl_b64 s[44:45], s[44:45], 1
	s_mov_b32 s46, s6
	v_add_co_u32 v9, vcc_lo, v25, s44
	s_lshl_b64 s[46:47], s[46:47], 1
	s_ashr_i32 s49, s8, 31
	s_mov_b32 s48, s8
	v_add_co_ci_u32_e32 v10, vcc_lo, s45, v26, vcc_lo
	v_add_co_u32 v11, vcc_lo, v25, s46
	s_lshl_b64 s[48:49], s[48:49], 1
	s_ashr_i32 s51, s10, 31
	s_mov_b32 s50, s10
	v_add_co_ci_u32_e32 v12, vcc_lo, s47, v26, vcc_lo
	v_add_co_u32 v13, vcc_lo, v25, s48
	s_lshl_b64 s[50:51], s[50:51], 1
	s_ashr_i32 s53, s12, 31
	v_add_co_ci_u32_e32 v14, vcc_lo, s49, v26, vcc_lo
	s_mov_b32 s52, s12
	v_add_co_u32 v15, vcc_lo, v25, s50
	s_lshl_b64 s[44:45], s[52:53], 1
	v_add_co_ci_u32_e32 v16, vcc_lo, s51, v26, vcc_lo
	s_ashr_i32 s47, s14, 31
	s_mov_b32 s46, s14
	v_add_co_u32 v27, vcc_lo, v25, s44
	v_add_co_ci_u32_e32 v28, vcc_lo, s45, v26, vcc_lo
	s_lshl_b64 s[44:45], s[46:47], 1
	s_ashr_i32 s47, s16, 31
	s_mov_b32 s46, s16
	v_add_co_u32 v29, vcc_lo, v25, s44
	v_add_co_ci_u32_e32 v30, vcc_lo, s45, v26, vcc_lo
	s_lshl_b64 s[44:45], s[46:47], 1
	;; [unrolled: 5-line block ×3, first 2 shown]
	s_mov_b32 s4, s7
	v_add_co_u32 v33, vcc_lo, v25, s44
	v_add_co_ci_u32_e32 v34, vcc_lo, s45, v26, vcc_lo
	s_clause 0x7
	global_load_u16 v9, v[9:10], off
	global_load_u16 v10, v[11:12], off
	;; [unrolled: 1-line block ×8, first 2 shown]
	s_ashr_i32 s45, s5, 31
	s_mov_b32 s44, s5
	s_ashr_i32 s5, s7, 31
	s_ashr_i32 s7, s9, 31
	s_mov_b32 s6, s9
	s_ashr_i32 s9, s11, 31
	s_mov_b32 s8, s11
	;; [unrolled: 2-line block ×6, first 2 shown]
	s_lshl_b64 s[18:19], s[44:45], 1
	s_lshl_b64 s[4:5], s[4:5], 1
	v_add_co_u32 v27, vcc_lo, v25, s18
	v_add_co_ci_u32_e32 v28, vcc_lo, s19, v26, vcc_lo
	v_add_co_u32 v29, vcc_lo, v25, s4
	s_lshl_b64 s[6:7], s[6:7], 1
	v_add_co_ci_u32_e32 v30, vcc_lo, s5, v26, vcc_lo
	v_add_co_u32 v31, vcc_lo, v25, s6
	s_lshl_b64 s[8:9], s[8:9], 1
	;; [unrolled: 3-line block ×6, first 2 shown]
	v_add_co_ci_u32_e32 v40, vcc_lo, s15, v26, vcc_lo
	v_add_co_u32 v41, vcc_lo, v25, s16
	v_add_co_ci_u32_e32 v42, vcc_lo, s17, v26, vcc_lo
	s_clause 0x7
	global_load_d16_hi_b16 v9, v[27:28], off
	global_load_d16_hi_b16 v10, v[29:30], off
	global_load_d16_hi_b16 v11, v[31:32], off
	global_load_d16_hi_b16 v12, v[33:34], off
	global_load_d16_hi_b16 v13, v[35:36], off
	global_load_d16_hi_b16 v14, v[37:38], off
	global_load_d16_hi_b16 v15, v[39:40], off
	global_load_d16_hi_b16 v16, v[41:42], off
	s_cbranch_execnz .LBB0_3
	s_branch .LBB0_10
.LBB0_9:                                ;   in Loop: Header=BB0_4 Depth=1
                                        ; implicit-def: $vgpr16
.LBB0_10:                               ;   in Loop: Header=BB0_4 Depth=1
	s_clause 0x1
	global_load_b128 v[9:12], v[19:20], off
	global_load_b128 v[13:16], v[19:20], off offset:16
	s_branch .LBB0_3
.LBB0_11:
	s_cmp_lt_u32 s33, 2
	s_mov_b32 s0, -1
	s_cbranch_scc0 .LBB0_30
; %bb.12:
	s_mov_b32 s0, exec_lo
	v_cmpx_gt_i32_e64 s29, v17
	s_cbranch_execz .LBB0_29
; %bb.13:
	v_ashrrev_i32_e32 v18, 31, v17
	v_add_nc_u32_e32 v11, s3, v21
	s_mov_b32 s1, exec_lo
	s_delay_alu instid0(VALU_DEP_2) | instskip(NEXT) | instid1(VALU_DEP_1)
	v_lshlrev_b64 v[9:10], 1, v[17:18]
	v_add_co_u32 v9, vcc_lo, s34, v9
	s_delay_alu instid0(VALU_DEP_2)
	v_add_co_ci_u32_e32 v10, vcc_lo, s35, v10, vcc_lo
	v_cmpx_gt_i32_e64 s28, v11
	s_cbranch_execz .LBB0_15
; %bb.14:
	v_mul_lo_u32 v12, v11, s29
	v_cvt_f16_f32_e32 v14, v1
	s_delay_alu instid0(VALU_DEP_2) | instskip(NEXT) | instid1(VALU_DEP_1)
	v_ashrrev_i32_e32 v13, 31, v12
	v_lshlrev_b64 v[12:13], 1, v[12:13]
	s_delay_alu instid0(VALU_DEP_1) | instskip(NEXT) | instid1(VALU_DEP_2)
	v_add_co_u32 v12, vcc_lo, v9, v12
	v_add_co_ci_u32_e32 v13, vcc_lo, v10, v13, vcc_lo
	global_store_b16 v[12:13], v14, off
.LBB0_15:
	s_or_b32 exec_lo, exec_lo, s1
	v_add_nc_u32_e32 v12, 2, v11
	s_mov_b32 s1, exec_lo
	s_delay_alu instid0(VALU_DEP_1)
	v_cmpx_gt_i32_e64 s28, v12
	s_cbranch_execz .LBB0_17
; %bb.16:
	v_mul_lo_u32 v12, v12, s29
	v_cvt_f16_f32_e32 v14, v2
	s_delay_alu instid0(VALU_DEP_2) | instskip(NEXT) | instid1(VALU_DEP_1)
	v_ashrrev_i32_e32 v13, 31, v12
	v_lshlrev_b64 v[12:13], 1, v[12:13]
	s_delay_alu instid0(VALU_DEP_1) | instskip(NEXT) | instid1(VALU_DEP_2)
	v_add_co_u32 v12, vcc_lo, v9, v12
	v_add_co_ci_u32_e32 v13, vcc_lo, v10, v13, vcc_lo
	global_store_b16 v[12:13], v14, off
.LBB0_17:
	s_or_b32 exec_lo, exec_lo, s1
	v_add_nc_u32_e32 v12, 4, v11
	s_mov_b32 s1, exec_lo
	s_delay_alu instid0(VALU_DEP_1)
	v_cmpx_gt_i32_e64 s28, v12
	s_cbranch_execz .LBB0_19
; %bb.18:
	v_mul_lo_u32 v12, v12, s29
	v_cvt_f16_f32_e32 v14, v3
	s_delay_alu instid0(VALU_DEP_2) | instskip(NEXT) | instid1(VALU_DEP_1)
	v_ashrrev_i32_e32 v13, 31, v12
	v_lshlrev_b64 v[12:13], 1, v[12:13]
	s_delay_alu instid0(VALU_DEP_1) | instskip(NEXT) | instid1(VALU_DEP_2)
	v_add_co_u32 v12, vcc_lo, v9, v12
	v_add_co_ci_u32_e32 v13, vcc_lo, v10, v13, vcc_lo
	global_store_b16 v[12:13], v14, off
.LBB0_19:
	s_or_b32 exec_lo, exec_lo, s1
	v_add_nc_u32_e32 v12, 6, v11
	s_mov_b32 s1, exec_lo
	s_delay_alu instid0(VALU_DEP_1)
	v_cmpx_gt_i32_e64 s28, v12
	s_cbranch_execz .LBB0_21
; %bb.20:
	v_mul_lo_u32 v12, v12, s29
	v_cvt_f16_f32_e32 v14, v4
	s_delay_alu instid0(VALU_DEP_2) | instskip(NEXT) | instid1(VALU_DEP_1)
	v_ashrrev_i32_e32 v13, 31, v12
	v_lshlrev_b64 v[12:13], 1, v[12:13]
	s_delay_alu instid0(VALU_DEP_1) | instskip(NEXT) | instid1(VALU_DEP_2)
	v_add_co_u32 v12, vcc_lo, v9, v12
	v_add_co_ci_u32_e32 v13, vcc_lo, v10, v13, vcc_lo
	global_store_b16 v[12:13], v14, off
.LBB0_21:
	s_or_b32 exec_lo, exec_lo, s1
	v_add_nc_u32_e32 v12, 8, v11
	s_mov_b32 s1, exec_lo
	s_delay_alu instid0(VALU_DEP_1)
	v_cmpx_gt_i32_e64 s28, v12
	s_cbranch_execz .LBB0_23
; %bb.22:
	v_mul_lo_u32 v12, v12, s29
	v_cvt_f16_f32_e32 v14, v5
	s_delay_alu instid0(VALU_DEP_2) | instskip(NEXT) | instid1(VALU_DEP_1)
	v_ashrrev_i32_e32 v13, 31, v12
	v_lshlrev_b64 v[12:13], 1, v[12:13]
	s_delay_alu instid0(VALU_DEP_1) | instskip(NEXT) | instid1(VALU_DEP_2)
	v_add_co_u32 v12, vcc_lo, v9, v12
	v_add_co_ci_u32_e32 v13, vcc_lo, v10, v13, vcc_lo
	global_store_b16 v[12:13], v14, off
.LBB0_23:
	s_or_b32 exec_lo, exec_lo, s1
	v_add_nc_u32_e32 v12, 10, v11
	s_mov_b32 s1, exec_lo
	s_delay_alu instid0(VALU_DEP_1)
	v_cmpx_gt_i32_e64 s28, v12
	s_cbranch_execz .LBB0_25
; %bb.24:
	v_mul_lo_u32 v12, v12, s29
	v_cvt_f16_f32_e32 v14, v6
	s_delay_alu instid0(VALU_DEP_2) | instskip(NEXT) | instid1(VALU_DEP_1)
	v_ashrrev_i32_e32 v13, 31, v12
	v_lshlrev_b64 v[12:13], 1, v[12:13]
	s_delay_alu instid0(VALU_DEP_1) | instskip(NEXT) | instid1(VALU_DEP_2)
	v_add_co_u32 v12, vcc_lo, v9, v12
	v_add_co_ci_u32_e32 v13, vcc_lo, v10, v13, vcc_lo
	global_store_b16 v[12:13], v14, off
.LBB0_25:
	s_or_b32 exec_lo, exec_lo, s1
	v_add_nc_u32_e32 v12, 12, v11
	s_mov_b32 s1, exec_lo
	s_delay_alu instid0(VALU_DEP_1)
	v_cmpx_gt_i32_e64 s28, v12
	s_cbranch_execz .LBB0_27
; %bb.26:
	v_mul_lo_u32 v12, v12, s29
	v_cvt_f16_f32_e32 v14, v7
	s_delay_alu instid0(VALU_DEP_2) | instskip(NEXT) | instid1(VALU_DEP_1)
	v_ashrrev_i32_e32 v13, 31, v12
	v_lshlrev_b64 v[12:13], 1, v[12:13]
	s_delay_alu instid0(VALU_DEP_1) | instskip(NEXT) | instid1(VALU_DEP_2)
	v_add_co_u32 v12, vcc_lo, v9, v12
	v_add_co_ci_u32_e32 v13, vcc_lo, v10, v13, vcc_lo
	global_store_b16 v[12:13], v14, off
.LBB0_27:
	s_or_b32 exec_lo, exec_lo, s1
	v_add_nc_u32_e32 v11, 14, v11
	s_delay_alu instid0(VALU_DEP_1)
	v_cmp_gt_i32_e32 vcc_lo, s28, v11
	s_and_b32 exec_lo, exec_lo, vcc_lo
	s_cbranch_execz .LBB0_29
; %bb.28:
	v_mul_lo_u32 v11, v11, s29
	s_delay_alu instid0(VALU_DEP_1) | instskip(NEXT) | instid1(VALU_DEP_1)
	v_ashrrev_i32_e32 v12, 31, v11
	v_lshlrev_b64 v[11:12], 1, v[11:12]
	s_delay_alu instid0(VALU_DEP_1) | instskip(NEXT) | instid1(VALU_DEP_2)
	v_add_co_u32 v9, vcc_lo, v9, v11
	v_add_co_ci_u32_e32 v10, vcc_lo, v10, v12, vcc_lo
	v_cvt_f16_f32_e32 v11, v8
	global_store_b16 v[9:10], v11, off
.LBB0_29:
	s_or_b32 exec_lo, exec_lo, s0
	s_mov_b32 s0, 0
.LBB0_30:
	s_delay_alu instid0(SALU_CYCLE_1)
	s_and_not1_b32 vcc_lo, exec_lo, s0
	s_cbranch_vccnz .LBB0_62
; %bb.31:
	v_mbcnt_lo_u32_b32 v9, -1, 0
	v_ashrrev_i32_e32 v18, 31, v17
	v_add_nc_u32_e32 v16, s3, v21
	v_and_b32_e32 v0, 1, v0
	s_delay_alu instid0(VALU_DEP_4) | instskip(NEXT) | instid1(VALU_DEP_3)
	v_xor_b32_e32 v10, 1, v9
	v_cmp_gt_i32_e64 s1, s28, v16
	s_delay_alu instid0(VALU_DEP_3) | instskip(NEXT) | instid1(VALU_DEP_3)
	v_cmp_eq_u32_e64 s0, 0, v0
	v_cmp_gt_i32_e32 vcc_lo, 32, v10
	s_delay_alu instid0(VALU_DEP_2) | instskip(SKIP_2) | instid1(VALU_DEP_2)
	s_and_b32 s1, s0, s1
	v_cndmask_b32_e32 v9, v9, v10, vcc_lo
	v_cmp_gt_i32_e32 vcc_lo, s29, v17
	v_lshlrev_b32_e32 v15, 2, v9
	v_lshlrev_b64 v[9:10], 1, v[17:18]
	s_and_b32 s1, s1, vcc_lo
	ds_bpermute_b32 v11, v15, v1
	v_add_co_u32 v13, s2, s34, v9
	s_delay_alu instid0(VALU_DEP_1)
	v_add_co_ci_u32_e64 v14, s2, s35, v10, s2
	s_mov_b32 s2, 0
	s_and_saveexec_b32 s3, s1
	s_cbranch_execz .LBB0_34
; %bb.32:
	v_mul_lo_u32 v9, v16, s29
	v_cvt_f16_f32_e32 v0, v1
	s_waitcnt lgkmcnt(0)
	v_cvt_f16_f32_e32 v1, v11
	s_delay_alu instid0(VALU_DEP_1) | instskip(NEXT) | instid1(VALU_DEP_4)
	v_pack_b32_f16 v0, v0, v1
	v_ashrrev_i32_e32 v10, 31, v9
	s_delay_alu instid0(VALU_DEP_1) | instskip(NEXT) | instid1(VALU_DEP_1)
	v_lshlrev_b64 v[9:10], 1, v[9:10]
	v_add_co_u32 v9, s1, v13, v9
	s_delay_alu instid0(VALU_DEP_1)
	v_add_co_ci_u32_e64 v10, s1, v14, v10, s1
	global_load_b32 v12, v[9:10], off
.LBB0_33:                               ; =>This Inner Loop Header: Depth=1
	s_waitcnt vmcnt(0)
	v_pk_add_f16 v11, v0, v12
	global_atomic_cmpswap_b32 v1, v[9:10], v[11:12], off glc
	s_waitcnt vmcnt(0)
	v_cmp_eq_u32_e64 s1, v1, v12
	v_mov_b32_e32 v12, v1
	s_delay_alu instid0(VALU_DEP_2) | instskip(NEXT) | instid1(SALU_CYCLE_1)
	s_or_b32 s2, s1, s2
	s_and_not1_b32 exec_lo, exec_lo, s2
	s_cbranch_execnz .LBB0_33
.LBB0_34:
	s_or_b32 exec_lo, exec_lo, s3
	ds_bpermute_b32 v9, v15, v2
	s_and_saveexec_b32 s2, s0
	s_cbranch_execz .LBB0_38
; %bb.35:
	v_add_nc_u32_e32 v0, 2, v16
	s_delay_alu instid0(VALU_DEP_1) | instskip(NEXT) | instid1(VALU_DEP_1)
	v_cmp_gt_i32_e64 s1, s28, v0
	s_and_b32 s1, s1, vcc_lo
	s_delay_alu instid0(SALU_CYCLE_1)
	s_and_b32 exec_lo, exec_lo, s1
	s_cbranch_execz .LBB0_38
; %bb.36:
	v_mul_lo_u32 v0, v0, s29
	v_cvt_f16_f32_e32 v2, v2
	s_waitcnt lgkmcnt(0)
	v_cvt_f16_f32_e32 v9, v9
	s_mov_b32 s3, 0
	s_delay_alu instid0(VALU_DEP_1) | instskip(NEXT) | instid1(VALU_DEP_4)
	v_pack_b32_f16 v2, v2, v9
	v_ashrrev_i32_e32 v1, 31, v0
	s_delay_alu instid0(VALU_DEP_1) | instskip(NEXT) | instid1(VALU_DEP_1)
	v_lshlrev_b64 v[0:1], 1, v[0:1]
	v_add_co_u32 v0, s1, v13, v0
	s_delay_alu instid0(VALU_DEP_1)
	v_add_co_ci_u32_e64 v1, s1, v14, v1, s1
	global_load_b32 v10, v[0:1], off
.LBB0_37:                               ; =>This Inner Loop Header: Depth=1
	s_waitcnt vmcnt(0)
	v_pk_add_f16 v9, v2, v10
	global_atomic_cmpswap_b32 v9, v[0:1], v[9:10], off glc
	s_waitcnt vmcnt(0)
	v_cmp_eq_u32_e64 s1, v9, v10
	v_mov_b32_e32 v10, v9
	s_delay_alu instid0(VALU_DEP_2) | instskip(NEXT) | instid1(SALU_CYCLE_1)
	s_or_b32 s3, s1, s3
	s_and_not1_b32 exec_lo, exec_lo, s3
	s_cbranch_execnz .LBB0_37
.LBB0_38:
	s_or_b32 exec_lo, exec_lo, s2
	ds_bpermute_b32 v2, v15, v3
	s_and_saveexec_b32 s2, s0
	s_cbranch_execz .LBB0_42
; %bb.39:
	v_add_nc_u32_e32 v0, 4, v16
	s_delay_alu instid0(VALU_DEP_1) | instskip(NEXT) | instid1(VALU_DEP_1)
	v_cmp_gt_i32_e64 s1, s28, v0
	s_and_b32 s1, s1, vcc_lo
	s_delay_alu instid0(SALU_CYCLE_1)
	s_and_b32 exec_lo, exec_lo, s1
	s_cbranch_execz .LBB0_42
; %bb.40:
	v_mul_lo_u32 v0, v0, s29
	v_cvt_f16_f32_e32 v3, v3
	s_waitcnt lgkmcnt(0)
	v_cvt_f16_f32_e32 v2, v2
	s_mov_b32 s3, 0
	s_delay_alu instid0(VALU_DEP_1) | instskip(NEXT) | instid1(VALU_DEP_4)
	v_pack_b32_f16 v2, v3, v2
	v_ashrrev_i32_e32 v1, 31, v0
	s_delay_alu instid0(VALU_DEP_1) | instskip(NEXT) | instid1(VALU_DEP_1)
	v_lshlrev_b64 v[0:1], 1, v[0:1]
	v_add_co_u32 v0, s1, v13, v0
	s_delay_alu instid0(VALU_DEP_1)
	v_add_co_ci_u32_e64 v1, s1, v14, v1, s1
	global_load_b32 v10, v[0:1], off
.LBB0_41:                               ; =>This Inner Loop Header: Depth=1
	s_waitcnt vmcnt(0)
	v_pk_add_f16 v9, v2, v10
	global_atomic_cmpswap_b32 v3, v[0:1], v[9:10], off glc
	s_waitcnt vmcnt(0)
	v_cmp_eq_u32_e64 s1, v3, v10
	v_mov_b32_e32 v10, v3
	s_delay_alu instid0(VALU_DEP_2) | instskip(NEXT) | instid1(SALU_CYCLE_1)
	s_or_b32 s3, s1, s3
	s_and_not1_b32 exec_lo, exec_lo, s3
	s_cbranch_execnz .LBB0_41
.LBB0_42:
	s_or_b32 exec_lo, exec_lo, s2
	s_waitcnt lgkmcnt(0)
	ds_bpermute_b32 v2, v15, v4
	s_and_saveexec_b32 s2, s0
	s_cbranch_execz .LBB0_46
; %bb.43:
	v_add_nc_u32_e32 v0, 6, v16
	s_delay_alu instid0(VALU_DEP_1) | instskip(NEXT) | instid1(VALU_DEP_1)
	v_cmp_gt_i32_e64 s1, s28, v0
	s_and_b32 s1, s1, vcc_lo
	s_delay_alu instid0(SALU_CYCLE_1)
	s_and_b32 exec_lo, exec_lo, s1
	s_cbranch_execz .LBB0_46
; %bb.44:
	v_mul_lo_u32 v0, v0, s29
	v_cvt_f16_f32_e32 v4, v4
	s_waitcnt lgkmcnt(0)
	v_cvt_f16_f32_e32 v2, v2
	s_mov_b32 s3, 0
	s_delay_alu instid0(VALU_DEP_1) | instskip(NEXT) | instid1(VALU_DEP_4)
	v_pack_b32_f16 v4, v4, v2
	v_ashrrev_i32_e32 v1, 31, v0
	s_delay_alu instid0(VALU_DEP_1) | instskip(NEXT) | instid1(VALU_DEP_1)
	v_lshlrev_b64 v[0:1], 1, v[0:1]
	v_add_co_u32 v0, s1, v13, v0
	s_delay_alu instid0(VALU_DEP_1)
	v_add_co_ci_u32_e64 v1, s1, v14, v1, s1
	global_load_b32 v3, v[0:1], off
.LBB0_45:                               ; =>This Inner Loop Header: Depth=1
	s_waitcnt vmcnt(0)
	v_pk_add_f16 v2, v4, v3
	global_atomic_cmpswap_b32 v2, v[0:1], v[2:3], off glc
	s_waitcnt vmcnt(0)
	v_cmp_eq_u32_e64 s1, v2, v3
	v_mov_b32_e32 v3, v2
	s_delay_alu instid0(VALU_DEP_2) | instskip(NEXT) | instid1(SALU_CYCLE_1)
	s_or_b32 s3, s1, s3
	s_and_not1_b32 exec_lo, exec_lo, s3
	s_cbranch_execnz .LBB0_45
.LBB0_46:
	s_or_b32 exec_lo, exec_lo, s2
	s_waitcnt lgkmcnt(0)
	;; [unrolled: 40-line block ×5, first 2 shown]
	ds_bpermute_b32 v2, v15, v8
	s_and_saveexec_b32 s1, s0
	s_cbranch_execz .LBB0_62
; %bb.59:
	v_add_nc_u32_e32 v0, 14, v16
	s_delay_alu instid0(VALU_DEP_1) | instskip(NEXT) | instid1(VALU_DEP_1)
	v_cmp_gt_i32_e64 s0, s28, v0
	s_and_b32 s0, s0, vcc_lo
	s_delay_alu instid0(SALU_CYCLE_1)
	s_and_b32 exec_lo, exec_lo, s0
	s_cbranch_execz .LBB0_62
; %bb.60:
	v_mul_lo_u32 v0, v0, s29
	v_cvt_f16_f32_e32 v4, v8
	s_waitcnt lgkmcnt(0)
	v_cvt_f16_f32_e32 v2, v2
	s_mov_b32 s0, 0
	s_delay_alu instid0(VALU_DEP_1) | instskip(NEXT) | instid1(VALU_DEP_4)
	v_pack_b32_f16 v4, v4, v2
	v_ashrrev_i32_e32 v1, 31, v0
	s_delay_alu instid0(VALU_DEP_1) | instskip(NEXT) | instid1(VALU_DEP_1)
	v_lshlrev_b64 v[0:1], 1, v[0:1]
	v_add_co_u32 v0, vcc_lo, v13, v0
	s_delay_alu instid0(VALU_DEP_2)
	v_add_co_ci_u32_e32 v1, vcc_lo, v14, v1, vcc_lo
	global_load_b32 v3, v[0:1], off
.LBB0_61:                               ; =>This Inner Loop Header: Depth=1
	s_waitcnt vmcnt(0)
	v_pk_add_f16 v2, v4, v3
	global_atomic_cmpswap_b32 v2, v[0:1], v[2:3], off glc
	s_waitcnt vmcnt(0)
	v_cmp_eq_u32_e32 vcc_lo, v2, v3
	v_mov_b32_e32 v3, v2
	s_or_b32 s0, vcc_lo, s0
	s_delay_alu instid0(SALU_CYCLE_1)
	s_and_not1_b32 exec_lo, exec_lo, s0
	s_cbranch_execnz .LBB0_61
.LBB0_62:
	s_nop 0
	s_sendmsg sendmsg(MSG_DEALLOC_VGPRS)
	s_endpgm
	.section	.rodata,"a",@progbits
	.p2align	6, 0x0
	.amdhsa_kernel _ZN4vllm15gptq_rdna3_wmma28gemm_q4_wmma_kernel_16x16_1wI6__halfEEvPKT_PKjS7_S5_PS3_iiiiiPKi
		.amdhsa_group_segment_fixed_size 512
		.amdhsa_private_segment_fixed_size 0
		.amdhsa_kernarg_size 328
		.amdhsa_user_sgpr_count 13
		.amdhsa_user_sgpr_dispatch_ptr 0
		.amdhsa_user_sgpr_queue_ptr 0
		.amdhsa_user_sgpr_kernarg_segment_ptr 1
		.amdhsa_user_sgpr_dispatch_id 0
		.amdhsa_user_sgpr_private_segment_size 0
		.amdhsa_wavefront_size32 1
		.amdhsa_uses_dynamic_stack 0
		.amdhsa_enable_private_segment 0
		.amdhsa_system_sgpr_workgroup_id_x 1
		.amdhsa_system_sgpr_workgroup_id_y 1
		.amdhsa_system_sgpr_workgroup_id_z 1
		.amdhsa_system_sgpr_workgroup_info 0
		.amdhsa_system_vgpr_workitem_id 0
		.amdhsa_next_free_vgpr 43
		.amdhsa_next_free_sgpr 54
		.amdhsa_reserve_vcc 1
		.amdhsa_float_round_mode_32 0
		.amdhsa_float_round_mode_16_64 0
		.amdhsa_float_denorm_mode_32 3
		.amdhsa_float_denorm_mode_16_64 3
		.amdhsa_dx10_clamp 1
		.amdhsa_ieee_mode 1
		.amdhsa_fp16_overflow 0
		.amdhsa_workgroup_processor_mode 1
		.amdhsa_memory_ordered 1
		.amdhsa_forward_progress 0
		.amdhsa_shared_vgpr_count 0
		.amdhsa_exception_fp_ieee_invalid_op 0
		.amdhsa_exception_fp_denorm_src 0
		.amdhsa_exception_fp_ieee_div_zero 0
		.amdhsa_exception_fp_ieee_overflow 0
		.amdhsa_exception_fp_ieee_underflow 0
		.amdhsa_exception_fp_ieee_inexact 0
		.amdhsa_exception_int_div_zero 0
	.end_amdhsa_kernel
	.section	.text._ZN4vllm15gptq_rdna3_wmma28gemm_q4_wmma_kernel_16x16_1wI6__halfEEvPKT_PKjS7_S5_PS3_iiiiiPKi,"axG",@progbits,_ZN4vllm15gptq_rdna3_wmma28gemm_q4_wmma_kernel_16x16_1wI6__halfEEvPKT_PKjS7_S5_PS3_iiiiiPKi,comdat
.Lfunc_end0:
	.size	_ZN4vllm15gptq_rdna3_wmma28gemm_q4_wmma_kernel_16x16_1wI6__halfEEvPKT_PKjS7_S5_PS3_iiiiiPKi, .Lfunc_end0-_ZN4vllm15gptq_rdna3_wmma28gemm_q4_wmma_kernel_16x16_1wI6__halfEEvPKT_PKjS7_S5_PS3_iiiiiPKi
                                        ; -- End function
	.section	.AMDGPU.csdata,"",@progbits
; Kernel info:
; codeLenInByte = 4260
; NumSgprs: 56
; NumVgprs: 43
; ScratchSize: 0
; MemoryBound: 1
; FloatMode: 240
; IeeeMode: 1
; LDSByteSize: 512 bytes/workgroup (compile time only)
; SGPRBlocks: 6
; VGPRBlocks: 5
; NumSGPRsForWavesPerEU: 56
; NumVGPRsForWavesPerEU: 43
; Occupancy: 16
; WaveLimiterHint : 1
; COMPUTE_PGM_RSRC2:SCRATCH_EN: 0
; COMPUTE_PGM_RSRC2:USER_SGPR: 13
; COMPUTE_PGM_RSRC2:TRAP_HANDLER: 0
; COMPUTE_PGM_RSRC2:TGID_X_EN: 1
; COMPUTE_PGM_RSRC2:TGID_Y_EN: 1
; COMPUTE_PGM_RSRC2:TGID_Z_EN: 1
; COMPUTE_PGM_RSRC2:TIDIG_COMP_CNT: 0
	.section	.text._ZN4vllm15gptq_rdna3_wmma28gemm_q4_wmma_kernel_32x16_2wI6__halfEEvPKT_PKjS7_S5_PS3_iiiiiPKi,"axG",@progbits,_ZN4vllm15gptq_rdna3_wmma28gemm_q4_wmma_kernel_32x16_2wI6__halfEEvPKT_PKjS7_S5_PS3_iiiiiPKi,comdat
	.protected	_ZN4vllm15gptq_rdna3_wmma28gemm_q4_wmma_kernel_32x16_2wI6__halfEEvPKT_PKjS7_S5_PS3_iiiiiPKi ; -- Begin function _ZN4vllm15gptq_rdna3_wmma28gemm_q4_wmma_kernel_32x16_2wI6__halfEEvPKT_PKjS7_S5_PS3_iiiiiPKi
	.globl	_ZN4vllm15gptq_rdna3_wmma28gemm_q4_wmma_kernel_32x16_2wI6__halfEEvPKT_PKjS7_S5_PS3_iiiiiPKi
	.p2align	8
	.type	_ZN4vllm15gptq_rdna3_wmma28gemm_q4_wmma_kernel_32x16_2wI6__halfEEvPKT_PKjS7_S5_PS3_iiiiiPKi,@function
_ZN4vllm15gptq_rdna3_wmma28gemm_q4_wmma_kernel_32x16_2wI6__halfEEvPKT_PKjS7_S5_PS3_iiiiiPKi: ; @_ZN4vllm15gptq_rdna3_wmma28gemm_q4_wmma_kernel_32x16_2wI6__halfEEvPKT_PKjS7_S5_PS3_iiiiiPKi
; %bb.0:
	s_load_b128 s[20:23], s[0:1], 0x28
	s_lshl_b32 s6, s14, 5
	s_lshl_b32 s10, s13, 4
	s_waitcnt lgkmcnt(0)
	s_cmp_ge_i32 s6, s20
	s_cselect_b32 s2, -1, 0
	s_cmp_ge_i32 s10, s21
	s_cselect_b32 s3, -1, 0
	s_delay_alu instid0(SALU_CYCLE_1) | instskip(NEXT) | instid1(SALU_CYCLE_1)
	s_or_b32 s2, s2, s3
	s_and_b32 vcc_lo, exec_lo, s2
	s_cbranch_vccnz .LBB1_71
; %bb.1:
	s_abs_i32 s2, s23
	s_clause 0x1
	s_load_b32 s3, s[0:1], 0x50
	s_load_b32 s33, s[0:1], 0x38
	v_cvt_f32_u32_e32 v1, s2
	s_sub_i32 s5, 0, s2
	s_abs_i32 s7, s22
	s_clause 0x1
	s_load_b128 s[24:27], s[0:1], 0x8
	s_load_b64 s[30:31], s[0:1], 0x18
	v_lshrrev_b32_e32 v9, 4, v0
	v_rcp_iflag_f32_e32 v1, v1
	v_bfe_u32 v21, v0, 4, 1
	v_and_b32_e32 v22, 15, v0
	s_delay_alu instid0(VALU_DEP_1) | instskip(SKIP_4) | instid1(VALU_DEP_2)
	v_or_b32_e32 v17, s10, v22
	s_waitcnt_depctr 0xfff
	v_mul_f32_e32 v1, 0x4f7ffffe, v1
	s_waitcnt lgkmcnt(0)
	v_cvt_f32_u32_e32 v2, s3
	v_cvt_u32_f32_e32 v1, v1
	s_delay_alu instid0(VALU_DEP_1) | instskip(NEXT) | instid1(VALU_DEP_3)
	v_readfirstlane_b32 s4, v1
	v_rcp_iflag_f32_e32 v1, v2
	s_delay_alu instid0(VALU_DEP_1) | instskip(NEXT) | instid1(SALU_CYCLE_1)
	s_mul_i32 s5, s5, s4
	s_mul_hi_u32 s5, s4, s5
	s_delay_alu instid0(SALU_CYCLE_1)
	s_add_i32 s4, s4, s5
	s_xor_b32 s5, s22, s23
	s_mul_hi_u32 s4, s7, s4
	s_waitcnt_depctr 0xfff
	v_mul_f32_e32 v1, 0x4f7ffffe, v1
	s_mul_i32 s8, s4, s2
	s_ashr_i32 s5, s5, 31
	s_sub_i32 s7, s7, s8
	s_add_i32 s8, s4, 1
	s_sub_i32 s9, s7, s2
	s_cmp_ge_u32 s7, s2
	v_cvt_u32_f32_e32 v1, v1
	s_cselect_b32 s4, s8, s4
	s_cselect_b32 s7, s9, s7
	s_add_i32 s8, s4, 1
	s_cmp_ge_u32 s7, s2
	v_readfirstlane_b32 s2, v1
	s_cselect_b32 s4, s8, s4
	s_sub_i32 s7, 0, s3
	s_delay_alu instid0(VALU_DEP_1) | instid1(SALU_CYCLE_1)
	s_mul_i32 s7, s7, s2
	s_delay_alu instid0(SALU_CYCLE_1) | instskip(NEXT) | instid1(SALU_CYCLE_1)
	s_mul_hi_u32 s7, s2, s7
	s_add_i32 s2, s2, s7
	s_delay_alu instid0(SALU_CYCLE_1)
	s_mul_hi_u32 s7, s22, s2
	s_xor_b32 s2, s4, s5
	s_mul_i32 s4, s7, s3
	s_sub_i32 s5, s2, s5
	s_sub_i32 s4, s22, s4
	s_add_i32 s8, s7, 1
	s_sub_i32 s9, s4, s3
	s_cmp_ge_u32 s4, s3
	v_cmp_lt_u32_e64 s2, 31, v0
	s_cselect_b32 s7, s8, s7
	s_cselect_b32 s4, s9, s4
	s_add_i32 s8, s7, 1
	s_cmp_ge_u32 s4, s3
	s_cselect_b32 s11, s8, s7
	s_mov_b32 s7, exec_lo
	s_mul_i32 s4, s11, s15
	v_cmpx_gt_u32_e32 32, v0
	s_cbranch_execz .LBB1_4
; %bb.2:
	v_cmp_gt_i32_e32 vcc_lo, s21, v17
	s_and_b32 exec_lo, exec_lo, vcc_lo
	s_cbranch_execz .LBB1_4
; %bb.3:
	s_abs_i32 s8, s5
	s_abs_i32 s14, s4
	v_cvt_f32_u32_e32 v1, s8
	s_sub_i32 s15, 0, s8
	s_ashr_i32 s9, s4, 31
	s_xor_b32 s13, s4, s5
	s_lshr_b32 s9, s9, 29
	v_rcp_iflag_f32_e32 v1, v1
	s_add_i32 s9, s4, s9
	s_ashr_i32 s13, s13, 31
	s_ashr_i32 s9, s9, 3
	s_delay_alu instid0(SALU_CYCLE_1) | instskip(NEXT) | instid1(VALU_DEP_1)
	v_add_nc_u32_e32 v6, s9, v21
	v_mad_u64_u32 v[4:5], null, v6, s21, v[17:18]
	s_waitcnt_depctr 0xfff
	v_mul_f32_e32 v1, 0x4f7ffffe, v1
	s_delay_alu instid0(VALU_DEP_1) | instskip(SKIP_1) | instid1(VALU_DEP_2)
	v_cvt_u32_f32_e32 v1, v1
	v_ashrrev_i32_e32 v5, 31, v4
	v_readfirstlane_b32 s12, v1
	v_ashrrev_i32_e32 v1, 31, v17
	s_delay_alu instid0(VALU_DEP_2) | instskip(NEXT) | instid1(VALU_DEP_1)
	s_mul_i32 s15, s15, s12
	v_lshrrev_b32_e32 v1, 29, v1
	s_mul_hi_u32 s15, s12, s15
	s_delay_alu instid0(SALU_CYCLE_1) | instskip(NEXT) | instid1(SALU_CYCLE_1)
	s_add_i32 s12, s12, s15
	s_mul_hi_u32 s12, s14, s12
	s_delay_alu instid0(VALU_DEP_1) | instskip(SKIP_1) | instid1(SALU_CYCLE_1)
	v_add_nc_u32_e32 v1, v17, v1
	s_mul_i32 s15, s12, s8
	s_sub_i32 s14, s14, s15
	s_add_i32 s15, s12, 1
	s_sub_i32 s16, s14, s8
	s_cmp_ge_u32 s14, s8
	v_ashrrev_i32_e32 v1, 3, v1
	s_cselect_b32 s12, s15, s12
	s_cselect_b32 s14, s16, s14
	s_add_i32 s15, s12, 1
	s_cmp_ge_u32 s14, s8
	s_cselect_b32 s8, s15, s12
	s_ashr_i32 s9, s21, 31
	s_xor_b32 s8, s8, s13
	s_lshr_b32 s9, s9, 29
	s_sub_i32 s8, s8, s13
	s_add_i32 s9, s21, s9
	s_delay_alu instid0(SALU_CYCLE_1) | instskip(NEXT) | instid1(SALU_CYCLE_1)
	s_ashr_i32 s9, s9, 3
	v_mad_u64_u32 v[2:3], null, s8, s9, v[1:2]
	s_delay_alu instid0(VALU_DEP_1) | instskip(NEXT) | instid1(VALU_DEP_1)
	v_ashrrev_i32_e32 v3, 31, v2
	v_lshlrev_b64 v[1:2], 2, v[2:3]
	v_lshlrev_b64 v[3:4], 2, v[4:5]
	v_mad_u64_u32 v[5:6], null, s8, s21, v[17:18]
	s_mov_b32 s8, 0xf000f
	s_delay_alu instid0(VALU_DEP_3) | instskip(NEXT) | instid1(VALU_DEP_4)
	v_add_co_u32 v1, vcc_lo, s26, v1
	v_add_co_ci_u32_e32 v2, vcc_lo, s27, v2, vcc_lo
	s_delay_alu instid0(VALU_DEP_3)
	v_ashrrev_i32_e32 v6, 31, v5
	global_load_b32 v7, v[1:2], off
	v_add_co_u32 v1, vcc_lo, s24, v3
	v_add_co_ci_u32_e32 v2, vcc_lo, s25, v4, vcc_lo
	global_load_b32 v3, v[1:2], off
	v_lshlrev_b64 v[1:2], 1, v[5:6]
	s_delay_alu instid0(VALU_DEP_1) | instskip(NEXT) | instid1(VALU_DEP_2)
	v_add_co_u32 v1, vcc_lo, s30, v1
	v_add_co_ci_u32_e32 v2, vcc_lo, s31, v2, vcc_lo
	global_load_u16 v1, v[1:2], off
	v_lshlrev_b32_e32 v2, 2, v0
	s_delay_alu instid0(VALU_DEP_1) | instskip(SKIP_1) | instid1(VALU_DEP_1)
	v_and_b32_e32 v2, 28, v2
	s_waitcnt vmcnt(2)
	v_bfe_u32 v2, v7, v2, 4
	v_lshlrev_b32_e32 v7, 1, v22
	s_delay_alu instid0(VALU_DEP_2) | instskip(NEXT) | instid1(VALU_DEP_2)
	v_add_nc_u32_e32 v2, s33, v2
	v_lshl_or_b32 v7, v9, 8, v7
	s_waitcnt vmcnt(1)
	v_lshrrev_b32_e32 v5, 4, v3
	v_lshrrev_b32_e32 v6, 8, v3
	v_and_or_b32 v4, v3, s8, 0x64006400
	v_lshrrev_b32_e32 v3, 12, v3
	v_or_b32_e32 v2, 0x6400, v2
	v_and_or_b32 v5, v5, s8, 0x64006400
	v_and_or_b32 v6, v6, s8, 0x64006400
	s_delay_alu instid0(VALU_DEP_4) | instskip(NEXT) | instid1(VALU_DEP_4)
	v_and_or_b32 v3, v3, s8, 0x64006400
	v_pk_add_f16 v4, v4, v2 op_sel_hi:[1,0] neg_lo:[0,1] neg_hi:[0,1]
	s_delay_alu instid0(VALU_DEP_4) | instskip(NEXT) | instid1(VALU_DEP_4)
	v_pk_add_f16 v5, v5, v2 op_sel_hi:[1,0] neg_lo:[0,1] neg_hi:[0,1]
	v_pk_add_f16 v6, v6, v2 op_sel_hi:[1,0] neg_lo:[0,1] neg_hi:[0,1]
	s_delay_alu instid0(VALU_DEP_4)
	v_pk_add_f16 v2, v3, v2 op_sel_hi:[1,0] neg_lo:[0,1] neg_hi:[0,1]
	s_waitcnt vmcnt(0)
	v_pk_mul_f16 v3, v1, v4 op_sel_hi:[0,1]
	v_pk_mul_f16 v4, v1, v5 op_sel_hi:[0,1]
	;; [unrolled: 1-line block ×4, first 2 shown]
	ds_store_b16 v7, v3
	ds_store_b16_d16_hi v7, v3 offset:32
	ds_store_b16 v7, v4 offset:64
	ds_store_b16_d16_hi v7, v4 offset:96
	ds_store_b16 v7, v5 offset:128
	;; [unrolled: 2-line block ×3, first 2 shown]
	ds_store_b16_d16_hi v7, v1 offset:224
.LBB1_4:
	s_or_b32 exec_lo, exec_lo, s7
	v_lshrrev_b32_e32 v1, 5, v0
	s_cmp_gt_i32 s11, 0
	s_waitcnt lgkmcnt(0)
	s_barrier
	buffer_gl0_inv
	v_lshl_add_u32 v23, v1, 4, s6
	s_cbranch_scc1 .LBB1_6
; %bb.5:
	v_lshl_add_u32 v13, v1, 4, s6
	s_mov_b32 s6, 0
	s_mov_b32 s7, 0
	s_branch .LBB1_7
.LBB1_6:
	s_mov_b32 s6, -1
                                        ; implicit-def: $sgpr7
                                        ; implicit-def: $vgpr13
.LBB1_7:
	s_load_b64 s[28:29], s[0:1], 0x20
	v_dual_mov_b32 v8, s7 :: v_dual_mov_b32 v7, s7
	v_dual_mov_b32 v6, s7 :: v_dual_mov_b32 v5, s7
	;; [unrolled: 1-line block ×4, first 2 shown]
	s_and_not1_b32 vcc_lo, exec_lo, s6
	s_cbranch_vccz .LBB1_10
; %bb.8:
	s_cmp_lt_u32 s3, 2
	s_mov_b32 s0, -1
	s_cbranch_scc1 .LBB1_21
.LBB1_9:
	s_and_not1_b32 vcc_lo, exec_lo, s0
	s_cbranch_vccz .LBB1_39
	s_branch .LBB1_71
.LBB1_10:
	s_clause 0x1
	s_load_b64 s[8:9], s[0:1], 0x40
	s_load_b64 s[6:7], s[0:1], 0x0
	s_ashr_i32 s0, s21, 31
	s_ashr_i32 s1, s10, 31
	s_lshr_b32 s0, s0, 29
	s_add_i32 s23, s4, s11
	s_add_i32 s0, s21, s0
	s_lshr_b32 s1, s1, 29
	s_ashr_i32 s34, s0, 3
	v_or_b32_e32 v5, v23, v22
	v_dual_mov_b32 v1, 0 :: v_dual_lshlrev_b32 v2, 2, v0
	v_lshlrev_b32_e32 v4, 3, v9
	v_add_nc_u32_e32 v12, s1, v17
	s_delay_alu instid0(VALU_DEP_4)
	v_mul_lo_u32 v8, v5, s22
	v_cmp_le_i32_e64 s0, s21, v17
	v_and_b32_e32 v24, 28, v2
	v_cmp_gt_i32_e64 s1, s20, v5
	v_mov_b32_e32 v5, v1
	v_ashrrev_i32_e32 v18, 3, v12
	s_waitcnt lgkmcnt(0)
	s_cmp_lg_u64 s[8:9], 0
	s_mov_b32 s42, 0
	s_cselect_b32 s35, -1, 0
	s_abs_i32 s36, s5
	v_ashrrev_i32_e32 v9, 31, v8
	v_cvt_f32_u32_e32 v3, s36
	s_sub_i32 s10, 0, s36
	s_mov_b32 s41, 0xf000f
	v_mov_b32_e32 v2, v1
	v_lshlrev_b64 v[8:9], 1, v[8:9]
	v_rcp_iflag_f32_e32 v7, v3
	v_dual_mov_b32 v3, v1 :: v_dual_add_nc_u32 v6, v23, v22
	v_dual_mov_b32 v4, v1 :: v_dual_lshlrev_b32 v25, 5, v4
	s_delay_alu instid0(VALU_DEP_3) | instskip(NEXT) | instid1(VALU_DEP_4)
	v_add_co_u32 v26, vcc_lo, s6, v8
	v_add_co_ci_u32_e32 v27, vcc_lo, s7, v9, vcc_lo
	s_waitcnt_depctr 0xfff
	v_dual_mov_b32 v8, v1 :: v_dual_mul_f32 v7, 0x4f7ffffe, v7
	v_mul_lo_u32 v10, s22, v6
	s_ashr_i32 s22, s5, 31
	s_ashr_i32 s5, s4, 31
	v_mov_b32_e32 v6, v1
	v_cvt_u32_f32_e32 v13, v7
	v_mov_b32_e32 v7, v1
	s_delay_alu instid0(VALU_DEP_4) | instskip(NEXT) | instid1(VALU_DEP_3)
	v_ashrrev_i32_e32 v11, 31, v10
	v_readfirstlane_b32 s12, v13
	s_delay_alu instid0(VALU_DEP_2) | instskip(NEXT) | instid1(VALU_DEP_2)
	v_lshlrev_b64 v[10:11], 1, v[10:11]
	s_mul_i32 s10, s10, s12
	s_delay_alu instid0(SALU_CYCLE_1)
	s_mul_hi_u32 s13, s12, s10
	s_lshl_b64 s[10:11], s[4:5], 2
	s_add_i32 s37, s12, s13
	s_add_u32 s8, s10, s8
	s_addc_u32 s9, s11, s9
	s_add_u32 s38, s8, 60
	s_addc_u32 s39, s9, 0
	s_lshl_b64 s[8:9], s[4:5], 1
	s_add_i32 s40, s4, 16
	s_add_u32 s4, s6, s8
	s_addc_u32 s5, s7, s9
	v_add_co_u32 v19, vcc_lo, s4, v10
	v_add_co_ci_u32_e32 v20, vcc_lo, s5, v11, vcc_lo
.LBB1_11:                               ; =>This Inner Loop Header: Depth=1
	s_cmp_ge_i32 s40, s23
	s_cselect_b32 s4, -1, 0
	s_delay_alu instid0(SALU_CYCLE_1) | instskip(NEXT) | instid1(SALU_CYCLE_1)
	s_or_b32 s4, s2, s4
	s_or_b32 s4, s4, s0
	s_delay_alu instid0(SALU_CYCLE_1) | instskip(NEXT) | instid1(SALU_CYCLE_1)
	s_xor_b32 s5, s4, -1
	s_and_saveexec_b32 s4, s5
	s_cbranch_execz .LBB1_13
; %bb.12:                               ;   in Loop: Header=BB1_11 Depth=1
	s_abs_i32 s6, s40
	s_ashr_i32 s5, s40, 31
	s_mul_hi_u32 s8, s6, s37
	s_lshr_b32 s7, s5, 29
	s_mul_i32 s9, s8, s36
	s_add_i32 s7, s40, s7
	s_sub_i32 s6, s6, s9
	s_ashr_i32 s7, s7, 3
	s_xor_b32 s5, s5, s22
	s_add_i32 s9, s8, 1
	s_sub_i32 s10, s6, s36
	s_cmp_ge_u32 s6, s36
	v_add_nc_u32_e32 v13, s7, v21
	s_cselect_b32 s8, s9, s8
	s_cselect_b32 s6, s10, s6
	s_add_i32 s9, s8, 1
	s_cmp_ge_u32 s6, s36
	v_mad_u64_u32 v[11:12], null, v13, s21, v[17:18]
	s_cselect_b32 s6, s9, s8
	s_delay_alu instid0(SALU_CYCLE_1) | instskip(NEXT) | instid1(SALU_CYCLE_1)
	s_xor_b32 s6, s6, s5
	s_sub_i32 s5, s6, s5
	s_delay_alu instid0(SALU_CYCLE_1) | instskip(NEXT) | instid1(VALU_DEP_2)
	v_mad_u64_u32 v[9:10], null, s5, s34, v[18:19]
	v_ashrrev_i32_e32 v12, 31, v11
	v_mad_u64_u32 v[13:14], null, s5, s21, v[17:18]
	s_lshl_b32 s5, s42, 9
	s_delay_alu instid0(VALU_DEP_2) | instskip(NEXT) | instid1(VALU_DEP_4)
	v_lshlrev_b64 v[11:12], 2, v[11:12]
	v_ashrrev_i32_e32 v10, 31, v9
	s_delay_alu instid0(VALU_DEP_3) | instskip(NEXT) | instid1(VALU_DEP_2)
	v_ashrrev_i32_e32 v14, 31, v13
	v_lshlrev_b64 v[9:10], 2, v[9:10]
	s_delay_alu instid0(VALU_DEP_1) | instskip(NEXT) | instid1(VALU_DEP_2)
	v_add_co_u32 v9, vcc_lo, s26, v9
	v_add_co_ci_u32_e32 v10, vcc_lo, s27, v10, vcc_lo
	global_load_b32 v15, v[9:10], off
	v_add_co_u32 v9, vcc_lo, s24, v11
	v_add_co_ci_u32_e32 v10, vcc_lo, s25, v12, vcc_lo
	global_load_b32 v11, v[9:10], off
	v_lshlrev_b64 v[9:10], 1, v[13:14]
	s_delay_alu instid0(VALU_DEP_1) | instskip(NEXT) | instid1(VALU_DEP_2)
	v_add_co_u32 v9, vcc_lo, s30, v9
	v_add_co_ci_u32_e32 v10, vcc_lo, s31, v10, vcc_lo
	global_load_u16 v9, v[9:10], off
	s_waitcnt vmcnt(2)
	v_bfe_u32 v10, v15, v24, 4
	v_subrev_nc_u32_e32 v15, s5, v25
	s_delay_alu instid0(VALU_DEP_2) | instskip(NEXT) | instid1(VALU_DEP_2)
	v_add_nc_u32_e32 v10, s33, v10
	v_lshl_or_b32 v15, v22, 1, v15
	s_waitcnt vmcnt(1)
	v_lshrrev_b32_e32 v13, 4, v11
	v_lshrrev_b32_e32 v14, 8, v11
	v_and_or_b32 v12, v11, s41, 0x64006400
	v_lshrrev_b32_e32 v11, 12, v11
	v_or_b32_e32 v10, 0x6400, v10
	v_and_or_b32 v13, v13, s41, 0x64006400
	v_and_or_b32 v14, v14, s41, 0x64006400
	s_delay_alu instid0(VALU_DEP_4) | instskip(NEXT) | instid1(VALU_DEP_4)
	v_and_or_b32 v11, v11, s41, 0x64006400
	v_pk_add_f16 v12, v12, v10 op_sel_hi:[1,0] neg_lo:[0,1] neg_hi:[0,1]
	s_delay_alu instid0(VALU_DEP_4) | instskip(NEXT) | instid1(VALU_DEP_4)
	v_pk_add_f16 v13, v13, v10 op_sel_hi:[1,0] neg_lo:[0,1] neg_hi:[0,1]
	v_pk_add_f16 v14, v14, v10 op_sel_hi:[1,0] neg_lo:[0,1] neg_hi:[0,1]
	s_delay_alu instid0(VALU_DEP_4)
	v_pk_add_f16 v10, v11, v10 op_sel_hi:[1,0] neg_lo:[0,1] neg_hi:[0,1]
	s_waitcnt vmcnt(0)
	v_pk_mul_f16 v11, v9, v12 op_sel_hi:[0,1]
	v_pk_mul_f16 v12, v9, v13 op_sel_hi:[0,1]
	v_pk_mul_f16 v13, v9, v14 op_sel_hi:[0,1]
	v_pk_mul_f16 v9, v9, v10 op_sel_hi:[0,1]
	ds_store_b16 v15, v11 offset:512
	ds_store_b16_d16_hi v15, v11 offset:544
	ds_store_b16 v15, v12 offset:576
	ds_store_b16_d16_hi v15, v12 offset:608
	;; [unrolled: 2-line block ×4, first 2 shown]
.LBB1_13:                               ;   in Loop: Header=BB1_11 Depth=1
	s_or_b32 exec_lo, exec_lo, s4
	v_dual_mov_b32 v9, 0 :: v_dual_mov_b32 v10, 0
	v_dual_mov_b32 v11, 0 :: v_dual_mov_b32 v12, 0
	;; [unrolled: 1-line block ×4, first 2 shown]
	s_and_saveexec_b32 s43, s1
	s_cbranch_execz .LBB1_17
; %bb.14:                               ;   in Loop: Header=BB1_11 Depth=1
	s_and_not1_b32 vcc_lo, exec_lo, s35
	s_cbranch_vccnz .LBB1_19
; %bb.15:                               ;   in Loop: Header=BB1_11 Depth=1
	s_add_u32 s4, s38, 0xffffffc4
	s_addc_u32 s5, s39, -1
	s_load_b512 s[4:19], s[4:5], 0x0
	s_waitcnt lgkmcnt(0)
	s_ashr_i32 s45, s4, 31
	s_mov_b32 s44, s4
	s_ashr_i32 s47, s6, 31
	s_lshl_b64 s[44:45], s[44:45], 1
	s_mov_b32 s46, s6
	v_add_co_u32 v9, vcc_lo, v26, s44
	s_lshl_b64 s[46:47], s[46:47], 1
	s_ashr_i32 s49, s8, 31
	s_mov_b32 s48, s8
	v_add_co_ci_u32_e32 v10, vcc_lo, s45, v27, vcc_lo
	v_add_co_u32 v11, vcc_lo, v26, s46
	s_lshl_b64 s[48:49], s[48:49], 1
	s_ashr_i32 s51, s10, 31
	s_mov_b32 s50, s10
	v_add_co_ci_u32_e32 v12, vcc_lo, s47, v27, vcc_lo
	v_add_co_u32 v13, vcc_lo, v26, s48
	s_lshl_b64 s[50:51], s[50:51], 1
	s_ashr_i32 s53, s12, 31
	v_add_co_ci_u32_e32 v14, vcc_lo, s49, v27, vcc_lo
	s_mov_b32 s52, s12
	v_add_co_u32 v15, vcc_lo, v26, s50
	s_lshl_b64 s[44:45], s[52:53], 1
	v_add_co_ci_u32_e32 v16, vcc_lo, s51, v27, vcc_lo
	s_ashr_i32 s47, s14, 31
	s_mov_b32 s46, s14
	v_add_co_u32 v28, vcc_lo, v26, s44
	v_add_co_ci_u32_e32 v29, vcc_lo, s45, v27, vcc_lo
	s_lshl_b64 s[44:45], s[46:47], 1
	s_ashr_i32 s47, s16, 31
	s_mov_b32 s46, s16
	v_add_co_u32 v30, vcc_lo, v26, s44
	v_add_co_ci_u32_e32 v31, vcc_lo, s45, v27, vcc_lo
	s_lshl_b64 s[44:45], s[46:47], 1
	;; [unrolled: 5-line block ×3, first 2 shown]
	s_mov_b32 s4, s7
	v_add_co_u32 v34, vcc_lo, v26, s44
	v_add_co_ci_u32_e32 v35, vcc_lo, s45, v27, vcc_lo
	s_clause 0x7
	global_load_u16 v9, v[9:10], off
	global_load_u16 v10, v[11:12], off
	;; [unrolled: 1-line block ×8, first 2 shown]
	s_ashr_i32 s45, s5, 31
	s_mov_b32 s44, s5
	s_ashr_i32 s5, s7, 31
	s_ashr_i32 s7, s9, 31
	s_mov_b32 s6, s9
	s_ashr_i32 s9, s11, 31
	s_mov_b32 s8, s11
	;; [unrolled: 2-line block ×6, first 2 shown]
	s_lshl_b64 s[18:19], s[44:45], 1
	s_lshl_b64 s[4:5], s[4:5], 1
	v_add_co_u32 v28, vcc_lo, v26, s18
	v_add_co_ci_u32_e32 v29, vcc_lo, s19, v27, vcc_lo
	v_add_co_u32 v30, vcc_lo, v26, s4
	s_lshl_b64 s[6:7], s[6:7], 1
	v_add_co_ci_u32_e32 v31, vcc_lo, s5, v27, vcc_lo
	v_add_co_u32 v32, vcc_lo, v26, s6
	s_lshl_b64 s[8:9], s[8:9], 1
	;; [unrolled: 3-line block ×6, first 2 shown]
	v_add_co_ci_u32_e32 v41, vcc_lo, s15, v27, vcc_lo
	v_add_co_u32 v42, vcc_lo, v26, s16
	v_add_co_ci_u32_e32 v43, vcc_lo, s17, v27, vcc_lo
	s_clause 0x7
	global_load_d16_hi_b16 v9, v[28:29], off
	global_load_d16_hi_b16 v10, v[30:31], off
	;; [unrolled: 1-line block ×8, first 2 shown]
	s_cbranch_execnz .LBB1_17
.LBB1_16:                               ;   in Loop: Header=BB1_11 Depth=1
	s_clause 0x1
	global_load_b128 v[9:12], v[19:20], off
	global_load_b128 v[13:16], v[19:20], off offset:16
.LBB1_17:                               ;   in Loop: Header=BB1_11 Depth=1
	s_or_b32 exec_lo, exec_lo, s43
	v_lshlrev_b32_e32 v28, 1, v22
	v_add_co_u32 v19, vcc_lo, v19, 32
	v_add_co_ci_u32_e32 v20, vcc_lo, 0, v20, vcc_lo
	s_delay_alu instid0(VALU_DEP_3)
	v_lshl_or_b32 v36, s42, 9, v28
	s_sub_i32 s42, 1, s42
	s_add_u32 s38, s38, 64
	s_addc_u32 s39, s39, 0
	s_add_i32 s4, s40, 16
	ds_load_u16 v28, v36
	ds_load_u16 v29, v36 offset:64
	ds_load_u16 v30, v36 offset:128
	ds_load_u16 v31, v36 offset:192
	ds_load_u16 v32, v36 offset:256
	ds_load_u16 v33, v36 offset:320
	ds_load_u16 v34, v36 offset:384
	ds_load_u16 v35, v36 offset:448
	s_cmp_ge_i32 s40, s23
	s_waitcnt lgkmcnt(7)
	ds_load_u16_d16_hi v28, v36 offset:32
	s_waitcnt lgkmcnt(7)
	ds_load_u16_d16_hi v29, v36 offset:96
	;; [unrolled: 2-line block ×8, first 2 shown]
	s_waitcnt vmcnt(0) lgkmcnt(0)
	s_barrier
	buffer_gl0_inv
	v_wmma_f32_16x16x16_f16 v[1:8], v[9:16], v[28:35], v[1:8]
	s_cbranch_scc1 .LBB1_20
; %bb.18:                               ;   in Loop: Header=BB1_11 Depth=1
	s_mov_b32 s40, s4
	s_branch .LBB1_11
.LBB1_19:                               ;   in Loop: Header=BB1_11 Depth=1
                                        ; implicit-def: $vgpr16
	s_branch .LBB1_16
.LBB1_20:
	v_mov_b32_e32 v13, v23
	s_cmp_lt_u32 s3, 2
	s_mov_b32 s0, -1
	s_cbranch_scc0 .LBB1_9
.LBB1_21:
	s_mov_b32 s0, exec_lo
	v_cmpx_gt_i32_e64 s21, v17
	s_cbranch_execz .LBB1_38
; %bb.22:
	v_ashrrev_i32_e32 v18, 31, v17
	v_or_b32_e32 v11, v13, v21
	s_mov_b32 s1, exec_lo
	s_delay_alu instid0(VALU_DEP_2) | instskip(SKIP_1) | instid1(VALU_DEP_1)
	v_lshlrev_b64 v[9:10], 1, v[17:18]
	s_waitcnt lgkmcnt(0)
	v_add_co_u32 v9, vcc_lo, s28, v9
	s_delay_alu instid0(VALU_DEP_2)
	v_add_co_ci_u32_e32 v10, vcc_lo, s29, v10, vcc_lo
	v_cmpx_gt_i32_e64 s20, v11
	s_cbranch_execz .LBB1_24
; %bb.23:
	v_mul_lo_u32 v11, v11, s21
	v_cvt_f16_f32_e32 v14, v1
	s_delay_alu instid0(VALU_DEP_2) | instskip(NEXT) | instid1(VALU_DEP_1)
	v_ashrrev_i32_e32 v12, 31, v11
	v_lshlrev_b64 v[11:12], 1, v[11:12]
	s_delay_alu instid0(VALU_DEP_1) | instskip(NEXT) | instid1(VALU_DEP_2)
	v_add_co_u32 v11, vcc_lo, v9, v11
	v_add_co_ci_u32_e32 v12, vcc_lo, v10, v12, vcc_lo
	global_store_b16 v[11:12], v14, off
.LBB1_24:
	s_or_b32 exec_lo, exec_lo, s1
	v_add3_u32 v11, v13, v21, 2
	s_mov_b32 s1, exec_lo
	s_delay_alu instid0(VALU_DEP_1)
	v_cmpx_gt_i32_e64 s20, v11
	s_cbranch_execz .LBB1_26
; %bb.25:
	v_mul_lo_u32 v11, v11, s21
	v_cvt_f16_f32_e32 v14, v2
	s_delay_alu instid0(VALU_DEP_2) | instskip(NEXT) | instid1(VALU_DEP_1)
	v_ashrrev_i32_e32 v12, 31, v11
	v_lshlrev_b64 v[11:12], 1, v[11:12]
	s_delay_alu instid0(VALU_DEP_1) | instskip(NEXT) | instid1(VALU_DEP_2)
	v_add_co_u32 v11, vcc_lo, v9, v11
	v_add_co_ci_u32_e32 v12, vcc_lo, v10, v12, vcc_lo
	global_store_b16 v[11:12], v14, off
.LBB1_26:
	s_or_b32 exec_lo, exec_lo, s1
	v_add3_u32 v11, v13, v21, 4
	s_mov_b32 s1, exec_lo
	s_delay_alu instid0(VALU_DEP_1)
	;; [unrolled: 17-line block ×6, first 2 shown]
	v_cmpx_gt_i32_e64 s20, v11
	s_cbranch_execz .LBB1_36
; %bb.35:
	v_mul_lo_u32 v11, v11, s21
	v_cvt_f16_f32_e32 v14, v7
	s_delay_alu instid0(VALU_DEP_2) | instskip(NEXT) | instid1(VALU_DEP_1)
	v_ashrrev_i32_e32 v12, 31, v11
	v_lshlrev_b64 v[11:12], 1, v[11:12]
	s_delay_alu instid0(VALU_DEP_1) | instskip(NEXT) | instid1(VALU_DEP_2)
	v_add_co_u32 v11, vcc_lo, v9, v11
	v_add_co_ci_u32_e32 v12, vcc_lo, v10, v12, vcc_lo
	global_store_b16 v[11:12], v14, off
.LBB1_36:
	s_or_b32 exec_lo, exec_lo, s1
	v_add3_u32 v11, v13, v21, 14
	s_delay_alu instid0(VALU_DEP_1)
	v_cmp_gt_i32_e32 vcc_lo, s20, v11
	s_and_b32 exec_lo, exec_lo, vcc_lo
	s_cbranch_execz .LBB1_38
; %bb.37:
	v_mul_lo_u32 v11, v11, s21
	s_delay_alu instid0(VALU_DEP_1) | instskip(NEXT) | instid1(VALU_DEP_1)
	v_ashrrev_i32_e32 v12, 31, v11
	v_lshlrev_b64 v[11:12], 1, v[11:12]
	s_delay_alu instid0(VALU_DEP_1) | instskip(NEXT) | instid1(VALU_DEP_2)
	v_add_co_u32 v9, vcc_lo, v9, v11
	v_add_co_ci_u32_e32 v10, vcc_lo, v10, v12, vcc_lo
	v_cvt_f16_f32_e32 v11, v8
	global_store_b16 v[9:10], v11, off
.LBB1_38:
	s_or_b32 exec_lo, exec_lo, s0
	s_cbranch_execnz .LBB1_71
.LBB1_39:
	v_mbcnt_lo_u32_b32 v9, -1, 0
	v_ashrrev_i32_e32 v18, 31, v17
	v_and_b32_e32 v0, 1, v0
	s_delay_alu instid0(VALU_DEP_3) | instskip(NEXT) | instid1(VALU_DEP_2)
	v_xor_b32_e32 v10, 1, v9
	v_cmp_eq_u32_e64 s0, 0, v0
	s_delay_alu instid0(VALU_DEP_2) | instskip(SKIP_2) | instid1(VALU_DEP_2)
	v_cmp_gt_i32_e32 vcc_lo, 32, v10
	v_cndmask_b32_e32 v9, v9, v10, vcc_lo
	v_cmp_gt_i32_e32 vcc_lo, s21, v17
	v_lshlrev_b32_e32 v16, 2, v9
	v_lshlrev_b64 v[9:10], 1, v[17:18]
	ds_bpermute_b32 v11, v16, v1
	s_waitcnt lgkmcnt(0)
	v_add_co_u32 v14, s1, s28, v9
	s_delay_alu instid0(VALU_DEP_1)
	v_add_co_ci_u32_e64 v15, s1, s29, v10, s1
	s_and_saveexec_b32 s2, s0
	s_cbranch_execz .LBB1_43
; %bb.40:
	v_or_b32_e32 v0, v13, v21
	s_delay_alu instid0(VALU_DEP_1) | instskip(NEXT) | instid1(VALU_DEP_1)
	v_cmp_gt_i32_e64 s1, s20, v0
	s_and_b32 s1, s1, vcc_lo
	s_delay_alu instid0(SALU_CYCLE_1)
	s_and_b32 exec_lo, exec_lo, s1
	s_cbranch_execz .LBB1_43
; %bb.41:
	v_mul_lo_u32 v9, v0, s21
	v_cvt_f16_f32_e32 v0, v1
	v_cvt_f16_f32_e32 v1, v11
	s_mov_b32 s3, 0
	s_delay_alu instid0(VALU_DEP_1) | instskip(NEXT) | instid1(VALU_DEP_4)
	v_pack_b32_f16 v0, v0, v1
	v_ashrrev_i32_e32 v10, 31, v9
	s_delay_alu instid0(VALU_DEP_1) | instskip(NEXT) | instid1(VALU_DEP_1)
	v_lshlrev_b64 v[9:10], 1, v[9:10]
	v_add_co_u32 v9, s1, v14, v9
	s_delay_alu instid0(VALU_DEP_1)
	v_add_co_ci_u32_e64 v10, s1, v15, v10, s1
	global_load_b32 v12, v[9:10], off
.LBB1_42:                               ; =>This Inner Loop Header: Depth=1
	s_waitcnt vmcnt(0)
	v_pk_add_f16 v11, v0, v12
	global_atomic_cmpswap_b32 v1, v[9:10], v[11:12], off glc
	s_waitcnt vmcnt(0)
	v_cmp_eq_u32_e64 s1, v1, v12
	v_mov_b32_e32 v12, v1
	s_delay_alu instid0(VALU_DEP_2) | instskip(NEXT) | instid1(SALU_CYCLE_1)
	s_or_b32 s3, s1, s3
	s_and_not1_b32 exec_lo, exec_lo, s3
	s_cbranch_execnz .LBB1_42
.LBB1_43:
	s_or_b32 exec_lo, exec_lo, s2
	ds_bpermute_b32 v9, v16, v2
	s_and_saveexec_b32 s2, s0
	s_cbranch_execz .LBB1_47
; %bb.44:
	v_add3_u32 v0, v13, v21, 2
	s_delay_alu instid0(VALU_DEP_1) | instskip(NEXT) | instid1(VALU_DEP_1)
	v_cmp_gt_i32_e64 s1, s20, v0
	s_and_b32 s1, s1, vcc_lo
	s_delay_alu instid0(SALU_CYCLE_1)
	s_and_b32 exec_lo, exec_lo, s1
	s_cbranch_execz .LBB1_47
; %bb.45:
	v_mul_lo_u32 v0, v0, s21
	v_cvt_f16_f32_e32 v2, v2
	s_waitcnt lgkmcnt(0)
	v_cvt_f16_f32_e32 v9, v9
	s_mov_b32 s3, 0
	s_delay_alu instid0(VALU_DEP_1) | instskip(NEXT) | instid1(VALU_DEP_4)
	v_pack_b32_f16 v2, v2, v9
	v_ashrrev_i32_e32 v1, 31, v0
	s_delay_alu instid0(VALU_DEP_1) | instskip(NEXT) | instid1(VALU_DEP_1)
	v_lshlrev_b64 v[0:1], 1, v[0:1]
	v_add_co_u32 v0, s1, v14, v0
	s_delay_alu instid0(VALU_DEP_1)
	v_add_co_ci_u32_e64 v1, s1, v15, v1, s1
	global_load_b32 v10, v[0:1], off
.LBB1_46:                               ; =>This Inner Loop Header: Depth=1
	s_waitcnt vmcnt(0)
	v_pk_add_f16 v9, v2, v10
	global_atomic_cmpswap_b32 v9, v[0:1], v[9:10], off glc
	s_waitcnt vmcnt(0)
	v_cmp_eq_u32_e64 s1, v9, v10
	v_mov_b32_e32 v10, v9
	s_delay_alu instid0(VALU_DEP_2) | instskip(NEXT) | instid1(SALU_CYCLE_1)
	s_or_b32 s3, s1, s3
	s_and_not1_b32 exec_lo, exec_lo, s3
	s_cbranch_execnz .LBB1_46
.LBB1_47:
	s_or_b32 exec_lo, exec_lo, s2
	ds_bpermute_b32 v2, v16, v3
	s_and_saveexec_b32 s2, s0
	s_cbranch_execz .LBB1_51
; %bb.48:
	v_add3_u32 v0, v13, v21, 4
	s_delay_alu instid0(VALU_DEP_1) | instskip(NEXT) | instid1(VALU_DEP_1)
	v_cmp_gt_i32_e64 s1, s20, v0
	s_and_b32 s1, s1, vcc_lo
	s_delay_alu instid0(SALU_CYCLE_1)
	s_and_b32 exec_lo, exec_lo, s1
	s_cbranch_execz .LBB1_51
; %bb.49:
	v_mul_lo_u32 v0, v0, s21
	v_cvt_f16_f32_e32 v3, v3
	s_waitcnt lgkmcnt(0)
	v_cvt_f16_f32_e32 v2, v2
	s_mov_b32 s3, 0
	s_delay_alu instid0(VALU_DEP_1) | instskip(NEXT) | instid1(VALU_DEP_4)
	v_pack_b32_f16 v2, v3, v2
	v_ashrrev_i32_e32 v1, 31, v0
	s_delay_alu instid0(VALU_DEP_1) | instskip(NEXT) | instid1(VALU_DEP_1)
	v_lshlrev_b64 v[0:1], 1, v[0:1]
	v_add_co_u32 v0, s1, v14, v0
	s_delay_alu instid0(VALU_DEP_1)
	v_add_co_ci_u32_e64 v1, s1, v15, v1, s1
	global_load_b32 v10, v[0:1], off
.LBB1_50:                               ; =>This Inner Loop Header: Depth=1
	s_waitcnt vmcnt(0)
	v_pk_add_f16 v9, v2, v10
	global_atomic_cmpswap_b32 v3, v[0:1], v[9:10], off glc
	s_waitcnt vmcnt(0)
	v_cmp_eq_u32_e64 s1, v3, v10
	v_mov_b32_e32 v10, v3
	s_delay_alu instid0(VALU_DEP_2) | instskip(NEXT) | instid1(SALU_CYCLE_1)
	s_or_b32 s3, s1, s3
	s_and_not1_b32 exec_lo, exec_lo, s3
	s_cbranch_execnz .LBB1_50
.LBB1_51:
	s_or_b32 exec_lo, exec_lo, s2
	s_waitcnt lgkmcnt(0)
	ds_bpermute_b32 v2, v16, v4
	s_and_saveexec_b32 s2, s0
	s_cbranch_execz .LBB1_55
; %bb.52:
	v_add3_u32 v0, v13, v21, 6
	s_delay_alu instid0(VALU_DEP_1) | instskip(NEXT) | instid1(VALU_DEP_1)
	v_cmp_gt_i32_e64 s1, s20, v0
	s_and_b32 s1, s1, vcc_lo
	s_delay_alu instid0(SALU_CYCLE_1)
	s_and_b32 exec_lo, exec_lo, s1
	s_cbranch_execz .LBB1_55
; %bb.53:
	v_mul_lo_u32 v0, v0, s21
	v_cvt_f16_f32_e32 v4, v4
	s_waitcnt lgkmcnt(0)
	v_cvt_f16_f32_e32 v2, v2
	s_mov_b32 s3, 0
	s_delay_alu instid0(VALU_DEP_1) | instskip(NEXT) | instid1(VALU_DEP_4)
	v_pack_b32_f16 v4, v4, v2
	v_ashrrev_i32_e32 v1, 31, v0
	s_delay_alu instid0(VALU_DEP_1) | instskip(NEXT) | instid1(VALU_DEP_1)
	v_lshlrev_b64 v[0:1], 1, v[0:1]
	v_add_co_u32 v0, s1, v14, v0
	s_delay_alu instid0(VALU_DEP_1)
	v_add_co_ci_u32_e64 v1, s1, v15, v1, s1
	global_load_b32 v3, v[0:1], off
.LBB1_54:                               ; =>This Inner Loop Header: Depth=1
	s_waitcnt vmcnt(0)
	v_pk_add_f16 v2, v4, v3
	global_atomic_cmpswap_b32 v2, v[0:1], v[2:3], off glc
	s_waitcnt vmcnt(0)
	v_cmp_eq_u32_e64 s1, v2, v3
	v_mov_b32_e32 v3, v2
	s_delay_alu instid0(VALU_DEP_2) | instskip(NEXT) | instid1(SALU_CYCLE_1)
	s_or_b32 s3, s1, s3
	s_and_not1_b32 exec_lo, exec_lo, s3
	s_cbranch_execnz .LBB1_54
.LBB1_55:
	s_or_b32 exec_lo, exec_lo, s2
	s_waitcnt lgkmcnt(0)
	;; [unrolled: 40-line block ×5, first 2 shown]
	ds_bpermute_b32 v2, v16, v8
	s_and_saveexec_b32 s1, s0
	s_cbranch_execz .LBB1_71
; %bb.68:
	v_add3_u32 v0, v13, v21, 14
	s_delay_alu instid0(VALU_DEP_1) | instskip(NEXT) | instid1(VALU_DEP_1)
	v_cmp_gt_i32_e64 s0, s20, v0
	s_and_b32 s0, s0, vcc_lo
	s_delay_alu instid0(SALU_CYCLE_1)
	s_and_b32 exec_lo, exec_lo, s0
	s_cbranch_execz .LBB1_71
; %bb.69:
	v_mul_lo_u32 v0, v0, s21
	v_cvt_f16_f32_e32 v4, v8
	s_waitcnt lgkmcnt(0)
	v_cvt_f16_f32_e32 v2, v2
	s_mov_b32 s0, 0
	s_delay_alu instid0(VALU_DEP_1) | instskip(NEXT) | instid1(VALU_DEP_4)
	v_pack_b32_f16 v4, v4, v2
	v_ashrrev_i32_e32 v1, 31, v0
	s_delay_alu instid0(VALU_DEP_1) | instskip(NEXT) | instid1(VALU_DEP_1)
	v_lshlrev_b64 v[0:1], 1, v[0:1]
	v_add_co_u32 v0, vcc_lo, v14, v0
	s_delay_alu instid0(VALU_DEP_2)
	v_add_co_ci_u32_e32 v1, vcc_lo, v15, v1, vcc_lo
	global_load_b32 v3, v[0:1], off
.LBB1_70:                               ; =>This Inner Loop Header: Depth=1
	s_waitcnt vmcnt(0)
	v_pk_add_f16 v2, v4, v3
	global_atomic_cmpswap_b32 v2, v[0:1], v[2:3], off glc
	s_waitcnt vmcnt(0)
	v_cmp_eq_u32_e32 vcc_lo, v2, v3
	v_mov_b32_e32 v3, v2
	s_or_b32 s0, vcc_lo, s0
	s_delay_alu instid0(SALU_CYCLE_1)
	s_and_not1_b32 exec_lo, exec_lo, s0
	s_cbranch_execnz .LBB1_70
.LBB1_71:
	s_nop 0
	s_sendmsg sendmsg(MSG_DEALLOC_VGPRS)
	s_endpgm
	.section	.rodata,"a",@progbits
	.p2align	6, 0x0
	.amdhsa_kernel _ZN4vllm15gptq_rdna3_wmma28gemm_q4_wmma_kernel_32x16_2wI6__halfEEvPKT_PKjS7_S5_PS3_iiiiiPKi
		.amdhsa_group_segment_fixed_size 1024
		.amdhsa_private_segment_fixed_size 0
		.amdhsa_kernarg_size 328
		.amdhsa_user_sgpr_count 13
		.amdhsa_user_sgpr_dispatch_ptr 0
		.amdhsa_user_sgpr_queue_ptr 0
		.amdhsa_user_sgpr_kernarg_segment_ptr 1
		.amdhsa_user_sgpr_dispatch_id 0
		.amdhsa_user_sgpr_private_segment_size 0
		.amdhsa_wavefront_size32 1
		.amdhsa_uses_dynamic_stack 0
		.amdhsa_enable_private_segment 0
		.amdhsa_system_sgpr_workgroup_id_x 1
		.amdhsa_system_sgpr_workgroup_id_y 1
		.amdhsa_system_sgpr_workgroup_id_z 1
		.amdhsa_system_sgpr_workgroup_info 0
		.amdhsa_system_vgpr_workitem_id 0
		.amdhsa_next_free_vgpr 44
		.amdhsa_next_free_sgpr 54
		.amdhsa_reserve_vcc 1
		.amdhsa_float_round_mode_32 0
		.amdhsa_float_round_mode_16_64 0
		.amdhsa_float_denorm_mode_32 3
		.amdhsa_float_denorm_mode_16_64 3
		.amdhsa_dx10_clamp 1
		.amdhsa_ieee_mode 1
		.amdhsa_fp16_overflow 0
		.amdhsa_workgroup_processor_mode 1
		.amdhsa_memory_ordered 1
		.amdhsa_forward_progress 0
		.amdhsa_shared_vgpr_count 0
		.amdhsa_exception_fp_ieee_invalid_op 0
		.amdhsa_exception_fp_denorm_src 0
		.amdhsa_exception_fp_ieee_div_zero 0
		.amdhsa_exception_fp_ieee_overflow 0
		.amdhsa_exception_fp_ieee_underflow 0
		.amdhsa_exception_fp_ieee_inexact 0
		.amdhsa_exception_int_div_zero 0
	.end_amdhsa_kernel
	.section	.text._ZN4vllm15gptq_rdna3_wmma28gemm_q4_wmma_kernel_32x16_2wI6__halfEEvPKT_PKjS7_S5_PS3_iiiiiPKi,"axG",@progbits,_ZN4vllm15gptq_rdna3_wmma28gemm_q4_wmma_kernel_32x16_2wI6__halfEEvPKT_PKjS7_S5_PS3_iiiiiPKi,comdat
.Lfunc_end1:
	.size	_ZN4vllm15gptq_rdna3_wmma28gemm_q4_wmma_kernel_32x16_2wI6__halfEEvPKT_PKjS7_S5_PS3_iiiiiPKi, .Lfunc_end1-_ZN4vllm15gptq_rdna3_wmma28gemm_q4_wmma_kernel_32x16_2wI6__halfEEvPKT_PKjS7_S5_PS3_iiiiiPKi
                                        ; -- End function
	.section	.AMDGPU.csdata,"",@progbits
; Kernel info:
; codeLenInByte = 5152
; NumSgprs: 56
; NumVgprs: 44
; ScratchSize: 0
; MemoryBound: 1
; FloatMode: 240
; IeeeMode: 1
; LDSByteSize: 1024 bytes/workgroup (compile time only)
; SGPRBlocks: 6
; VGPRBlocks: 5
; NumSGPRsForWavesPerEU: 56
; NumVGPRsForWavesPerEU: 44
; Occupancy: 16
; WaveLimiterHint : 1
; COMPUTE_PGM_RSRC2:SCRATCH_EN: 0
; COMPUTE_PGM_RSRC2:USER_SGPR: 13
; COMPUTE_PGM_RSRC2:TRAP_HANDLER: 0
; COMPUTE_PGM_RSRC2:TGID_X_EN: 1
; COMPUTE_PGM_RSRC2:TGID_Y_EN: 1
; COMPUTE_PGM_RSRC2:TGID_Z_EN: 1
; COMPUTE_PGM_RSRC2:TIDIG_COMP_CNT: 0
	.section	.text._ZN4vllm15gptq_rdna3_wmma28gemm_q4_wmma_kernel_64x16_4wI6__halfEEvPKT_PKjS7_S5_PS3_iiiiiPKi,"axG",@progbits,_ZN4vllm15gptq_rdna3_wmma28gemm_q4_wmma_kernel_64x16_4wI6__halfEEvPKT_PKjS7_S5_PS3_iiiiiPKi,comdat
	.protected	_ZN4vllm15gptq_rdna3_wmma28gemm_q4_wmma_kernel_64x16_4wI6__halfEEvPKT_PKjS7_S5_PS3_iiiiiPKi ; -- Begin function _ZN4vllm15gptq_rdna3_wmma28gemm_q4_wmma_kernel_64x16_4wI6__halfEEvPKT_PKjS7_S5_PS3_iiiiiPKi
	.globl	_ZN4vllm15gptq_rdna3_wmma28gemm_q4_wmma_kernel_64x16_4wI6__halfEEvPKT_PKjS7_S5_PS3_iiiiiPKi
	.p2align	8
	.type	_ZN4vllm15gptq_rdna3_wmma28gemm_q4_wmma_kernel_64x16_4wI6__halfEEvPKT_PKjS7_S5_PS3_iiiiiPKi,@function
_ZN4vllm15gptq_rdna3_wmma28gemm_q4_wmma_kernel_64x16_4wI6__halfEEvPKT_PKjS7_S5_PS3_iiiiiPKi: ; @_ZN4vllm15gptq_rdna3_wmma28gemm_q4_wmma_kernel_64x16_4wI6__halfEEvPKT_PKjS7_S5_PS3_iiiiiPKi
; %bb.0:
	s_load_b128 s[20:23], s[0:1], 0x28
	s_lshl_b32 s6, s14, 6
	s_lshl_b32 s10, s13, 4
	s_waitcnt lgkmcnt(0)
	s_cmp_ge_i32 s6, s20
	s_cselect_b32 s2, -1, 0
	s_cmp_ge_i32 s10, s21
	s_cselect_b32 s3, -1, 0
	s_delay_alu instid0(SALU_CYCLE_1) | instskip(NEXT) | instid1(SALU_CYCLE_1)
	s_or_b32 s2, s2, s3
	s_and_b32 vcc_lo, exec_lo, s2
	s_cbranch_vccnz .LBB2_71
; %bb.1:
	s_abs_i32 s2, s23
	s_clause 0x1
	s_load_b32 s3, s[0:1], 0x50
	s_load_b32 s33, s[0:1], 0x38
	v_cvt_f32_u32_e32 v1, s2
	s_sub_i32 s5, 0, s2
	s_abs_i32 s7, s22
	s_clause 0x1
	s_load_b128 s[24:27], s[0:1], 0x8
	s_load_b64 s[30:31], s[0:1], 0x18
	v_lshrrev_b32_e32 v9, 4, v0
	v_rcp_iflag_f32_e32 v1, v1
	v_bfe_u32 v21, v0, 4, 1
	v_and_b32_e32 v22, 15, v0
	s_delay_alu instid0(VALU_DEP_1) | instskip(SKIP_4) | instid1(VALU_DEP_2)
	v_or_b32_e32 v17, s10, v22
	s_waitcnt_depctr 0xfff
	v_mul_f32_e32 v1, 0x4f7ffffe, v1
	s_waitcnt lgkmcnt(0)
	v_cvt_f32_u32_e32 v2, s3
	v_cvt_u32_f32_e32 v1, v1
	s_delay_alu instid0(VALU_DEP_1) | instskip(NEXT) | instid1(VALU_DEP_3)
	v_readfirstlane_b32 s4, v1
	v_rcp_iflag_f32_e32 v1, v2
	s_delay_alu instid0(VALU_DEP_1) | instskip(NEXT) | instid1(SALU_CYCLE_1)
	s_mul_i32 s5, s5, s4
	s_mul_hi_u32 s5, s4, s5
	s_delay_alu instid0(SALU_CYCLE_1)
	s_add_i32 s4, s4, s5
	s_xor_b32 s5, s22, s23
	s_mul_hi_u32 s4, s7, s4
	s_waitcnt_depctr 0xfff
	v_mul_f32_e32 v1, 0x4f7ffffe, v1
	s_mul_i32 s8, s4, s2
	s_ashr_i32 s5, s5, 31
	s_sub_i32 s7, s7, s8
	s_add_i32 s8, s4, 1
	s_sub_i32 s9, s7, s2
	s_cmp_ge_u32 s7, s2
	v_cvt_u32_f32_e32 v1, v1
	s_cselect_b32 s4, s8, s4
	s_cselect_b32 s7, s9, s7
	s_add_i32 s8, s4, 1
	s_cmp_ge_u32 s7, s2
	v_readfirstlane_b32 s2, v1
	s_cselect_b32 s4, s8, s4
	s_sub_i32 s7, 0, s3
	s_delay_alu instid0(VALU_DEP_1) | instid1(SALU_CYCLE_1)
	s_mul_i32 s7, s7, s2
	s_delay_alu instid0(SALU_CYCLE_1) | instskip(NEXT) | instid1(SALU_CYCLE_1)
	s_mul_hi_u32 s7, s2, s7
	s_add_i32 s2, s2, s7
	s_delay_alu instid0(SALU_CYCLE_1)
	s_mul_hi_u32 s7, s22, s2
	s_xor_b32 s2, s4, s5
	s_mul_i32 s4, s7, s3
	s_sub_i32 s5, s2, s5
	s_sub_i32 s4, s22, s4
	s_add_i32 s8, s7, 1
	s_sub_i32 s9, s4, s3
	s_cmp_ge_u32 s4, s3
	v_cmp_lt_u32_e64 s2, 31, v0
	s_cselect_b32 s7, s8, s7
	s_cselect_b32 s4, s9, s4
	s_add_i32 s8, s7, 1
	s_cmp_ge_u32 s4, s3
	s_cselect_b32 s11, s8, s7
	s_mov_b32 s7, exec_lo
	s_mul_i32 s4, s11, s15
	v_cmpx_gt_u32_e32 32, v0
	s_cbranch_execz .LBB2_4
; %bb.2:
	v_cmp_gt_i32_e32 vcc_lo, s21, v17
	s_and_b32 exec_lo, exec_lo, vcc_lo
	s_cbranch_execz .LBB2_4
; %bb.3:
	s_abs_i32 s8, s5
	s_abs_i32 s14, s4
	v_cvt_f32_u32_e32 v1, s8
	s_sub_i32 s15, 0, s8
	s_ashr_i32 s9, s4, 31
	s_xor_b32 s13, s4, s5
	s_lshr_b32 s9, s9, 29
	v_rcp_iflag_f32_e32 v1, v1
	s_add_i32 s9, s4, s9
	s_ashr_i32 s13, s13, 31
	s_ashr_i32 s9, s9, 3
	s_delay_alu instid0(SALU_CYCLE_1) | instskip(NEXT) | instid1(VALU_DEP_1)
	v_add_nc_u32_e32 v6, s9, v21
	v_mad_u64_u32 v[4:5], null, v6, s21, v[17:18]
	s_waitcnt_depctr 0xfff
	v_mul_f32_e32 v1, 0x4f7ffffe, v1
	s_delay_alu instid0(VALU_DEP_1) | instskip(SKIP_1) | instid1(VALU_DEP_2)
	v_cvt_u32_f32_e32 v1, v1
	v_ashrrev_i32_e32 v5, 31, v4
	v_readfirstlane_b32 s12, v1
	v_ashrrev_i32_e32 v1, 31, v17
	s_delay_alu instid0(VALU_DEP_2) | instskip(NEXT) | instid1(VALU_DEP_1)
	s_mul_i32 s15, s15, s12
	v_lshrrev_b32_e32 v1, 29, v1
	s_mul_hi_u32 s15, s12, s15
	s_delay_alu instid0(SALU_CYCLE_1) | instskip(NEXT) | instid1(SALU_CYCLE_1)
	s_add_i32 s12, s12, s15
	s_mul_hi_u32 s12, s14, s12
	s_delay_alu instid0(VALU_DEP_1) | instskip(SKIP_1) | instid1(SALU_CYCLE_1)
	v_add_nc_u32_e32 v1, v17, v1
	s_mul_i32 s15, s12, s8
	s_sub_i32 s14, s14, s15
	s_add_i32 s15, s12, 1
	s_sub_i32 s16, s14, s8
	s_cmp_ge_u32 s14, s8
	v_ashrrev_i32_e32 v1, 3, v1
	s_cselect_b32 s12, s15, s12
	s_cselect_b32 s14, s16, s14
	s_add_i32 s15, s12, 1
	s_cmp_ge_u32 s14, s8
	s_cselect_b32 s8, s15, s12
	s_ashr_i32 s9, s21, 31
	s_xor_b32 s8, s8, s13
	s_lshr_b32 s9, s9, 29
	s_sub_i32 s8, s8, s13
	s_add_i32 s9, s21, s9
	s_delay_alu instid0(SALU_CYCLE_1) | instskip(NEXT) | instid1(SALU_CYCLE_1)
	s_ashr_i32 s9, s9, 3
	v_mad_u64_u32 v[2:3], null, s8, s9, v[1:2]
	s_delay_alu instid0(VALU_DEP_1) | instskip(NEXT) | instid1(VALU_DEP_1)
	v_ashrrev_i32_e32 v3, 31, v2
	v_lshlrev_b64 v[1:2], 2, v[2:3]
	v_lshlrev_b64 v[3:4], 2, v[4:5]
	v_mad_u64_u32 v[5:6], null, s8, s21, v[17:18]
	s_mov_b32 s8, 0xf000f
	s_delay_alu instid0(VALU_DEP_3) | instskip(NEXT) | instid1(VALU_DEP_4)
	v_add_co_u32 v1, vcc_lo, s26, v1
	v_add_co_ci_u32_e32 v2, vcc_lo, s27, v2, vcc_lo
	s_delay_alu instid0(VALU_DEP_3)
	v_ashrrev_i32_e32 v6, 31, v5
	global_load_b32 v7, v[1:2], off
	v_add_co_u32 v1, vcc_lo, s24, v3
	v_add_co_ci_u32_e32 v2, vcc_lo, s25, v4, vcc_lo
	global_load_b32 v3, v[1:2], off
	v_lshlrev_b64 v[1:2], 1, v[5:6]
	s_delay_alu instid0(VALU_DEP_1) | instskip(NEXT) | instid1(VALU_DEP_2)
	v_add_co_u32 v1, vcc_lo, s30, v1
	v_add_co_ci_u32_e32 v2, vcc_lo, s31, v2, vcc_lo
	global_load_u16 v1, v[1:2], off
	v_lshlrev_b32_e32 v2, 2, v0
	s_delay_alu instid0(VALU_DEP_1) | instskip(SKIP_1) | instid1(VALU_DEP_1)
	v_and_b32_e32 v2, 28, v2
	s_waitcnt vmcnt(2)
	v_bfe_u32 v2, v7, v2, 4
	v_lshlrev_b32_e32 v7, 1, v22
	s_delay_alu instid0(VALU_DEP_2) | instskip(NEXT) | instid1(VALU_DEP_2)
	v_add_nc_u32_e32 v2, s33, v2
	v_lshl_or_b32 v7, v9, 8, v7
	s_waitcnt vmcnt(1)
	v_lshrrev_b32_e32 v5, 4, v3
	v_lshrrev_b32_e32 v6, 8, v3
	v_and_or_b32 v4, v3, s8, 0x64006400
	v_lshrrev_b32_e32 v3, 12, v3
	v_or_b32_e32 v2, 0x6400, v2
	v_and_or_b32 v5, v5, s8, 0x64006400
	v_and_or_b32 v6, v6, s8, 0x64006400
	s_delay_alu instid0(VALU_DEP_4) | instskip(NEXT) | instid1(VALU_DEP_4)
	v_and_or_b32 v3, v3, s8, 0x64006400
	v_pk_add_f16 v4, v4, v2 op_sel_hi:[1,0] neg_lo:[0,1] neg_hi:[0,1]
	s_delay_alu instid0(VALU_DEP_4) | instskip(NEXT) | instid1(VALU_DEP_4)
	v_pk_add_f16 v5, v5, v2 op_sel_hi:[1,0] neg_lo:[0,1] neg_hi:[0,1]
	v_pk_add_f16 v6, v6, v2 op_sel_hi:[1,0] neg_lo:[0,1] neg_hi:[0,1]
	s_delay_alu instid0(VALU_DEP_4)
	v_pk_add_f16 v2, v3, v2 op_sel_hi:[1,0] neg_lo:[0,1] neg_hi:[0,1]
	s_waitcnt vmcnt(0)
	v_pk_mul_f16 v3, v1, v4 op_sel_hi:[0,1]
	v_pk_mul_f16 v4, v1, v5 op_sel_hi:[0,1]
	;; [unrolled: 1-line block ×4, first 2 shown]
	ds_store_b16 v7, v3
	ds_store_b16_d16_hi v7, v3 offset:32
	ds_store_b16 v7, v4 offset:64
	ds_store_b16_d16_hi v7, v4 offset:96
	ds_store_b16 v7, v5 offset:128
	;; [unrolled: 2-line block ×3, first 2 shown]
	ds_store_b16_d16_hi v7, v1 offset:224
.LBB2_4:
	s_or_b32 exec_lo, exec_lo, s7
	v_lshrrev_b32_e32 v1, 5, v0
	s_cmp_gt_i32 s11, 0
	s_waitcnt lgkmcnt(0)
	s_barrier
	buffer_gl0_inv
	v_lshl_add_u32 v23, v1, 4, s6
	s_cbranch_scc1 .LBB2_6
; %bb.5:
	v_lshl_add_u32 v13, v1, 4, s6
	s_mov_b32 s6, 0
	s_mov_b32 s7, 0
	s_branch .LBB2_7
.LBB2_6:
	s_mov_b32 s6, -1
                                        ; implicit-def: $sgpr7
                                        ; implicit-def: $vgpr13
.LBB2_7:
	s_load_b64 s[28:29], s[0:1], 0x20
	v_dual_mov_b32 v8, s7 :: v_dual_mov_b32 v7, s7
	v_dual_mov_b32 v6, s7 :: v_dual_mov_b32 v5, s7
	;; [unrolled: 1-line block ×4, first 2 shown]
	s_and_not1_b32 vcc_lo, exec_lo, s6
	s_cbranch_vccz .LBB2_10
; %bb.8:
	s_cmp_lt_u32 s3, 2
	s_mov_b32 s0, -1
	s_cbranch_scc1 .LBB2_21
.LBB2_9:
	s_and_not1_b32 vcc_lo, exec_lo, s0
	s_cbranch_vccz .LBB2_39
	s_branch .LBB2_71
.LBB2_10:
	s_clause 0x1
	s_load_b64 s[8:9], s[0:1], 0x40
	s_load_b64 s[6:7], s[0:1], 0x0
	s_ashr_i32 s0, s21, 31
	s_ashr_i32 s1, s10, 31
	s_lshr_b32 s0, s0, 29
	s_add_i32 s23, s4, s11
	s_add_i32 s0, s21, s0
	s_lshr_b32 s1, s1, 29
	s_ashr_i32 s34, s0, 3
	v_or_b32_e32 v5, v23, v22
	v_dual_mov_b32 v1, 0 :: v_dual_lshlrev_b32 v2, 2, v0
	v_lshlrev_b32_e32 v4, 3, v9
	v_add_nc_u32_e32 v12, s1, v17
	s_delay_alu instid0(VALU_DEP_4)
	v_mul_lo_u32 v8, v5, s22
	v_cmp_le_i32_e64 s0, s21, v17
	v_and_b32_e32 v24, 28, v2
	v_cmp_gt_i32_e64 s1, s20, v5
	v_mov_b32_e32 v5, v1
	v_ashrrev_i32_e32 v18, 3, v12
	s_waitcnt lgkmcnt(0)
	s_cmp_lg_u64 s[8:9], 0
	s_mov_b32 s42, 0
	s_cselect_b32 s35, -1, 0
	s_abs_i32 s36, s5
	v_ashrrev_i32_e32 v9, 31, v8
	v_cvt_f32_u32_e32 v3, s36
	s_sub_i32 s10, 0, s36
	s_mov_b32 s41, 0xf000f
	v_mov_b32_e32 v2, v1
	v_lshlrev_b64 v[8:9], 1, v[8:9]
	v_rcp_iflag_f32_e32 v7, v3
	v_dual_mov_b32 v3, v1 :: v_dual_add_nc_u32 v6, v23, v22
	v_dual_mov_b32 v4, v1 :: v_dual_lshlrev_b32 v25, 5, v4
	s_delay_alu instid0(VALU_DEP_3) | instskip(NEXT) | instid1(VALU_DEP_4)
	v_add_co_u32 v26, vcc_lo, s6, v8
	v_add_co_ci_u32_e32 v27, vcc_lo, s7, v9, vcc_lo
	s_waitcnt_depctr 0xfff
	v_dual_mov_b32 v8, v1 :: v_dual_mul_f32 v7, 0x4f7ffffe, v7
	v_mul_lo_u32 v10, s22, v6
	s_ashr_i32 s22, s5, 31
	s_ashr_i32 s5, s4, 31
	v_mov_b32_e32 v6, v1
	v_cvt_u32_f32_e32 v13, v7
	v_mov_b32_e32 v7, v1
	s_delay_alu instid0(VALU_DEP_4) | instskip(NEXT) | instid1(VALU_DEP_3)
	v_ashrrev_i32_e32 v11, 31, v10
	v_readfirstlane_b32 s12, v13
	s_delay_alu instid0(VALU_DEP_2) | instskip(NEXT) | instid1(VALU_DEP_2)
	v_lshlrev_b64 v[10:11], 1, v[10:11]
	s_mul_i32 s10, s10, s12
	s_delay_alu instid0(SALU_CYCLE_1)
	s_mul_hi_u32 s13, s12, s10
	s_lshl_b64 s[10:11], s[4:5], 2
	s_add_i32 s37, s12, s13
	s_add_u32 s8, s10, s8
	s_addc_u32 s9, s11, s9
	s_add_u32 s38, s8, 60
	s_addc_u32 s39, s9, 0
	s_lshl_b64 s[8:9], s[4:5], 1
	s_add_i32 s40, s4, 16
	s_add_u32 s4, s6, s8
	s_addc_u32 s5, s7, s9
	v_add_co_u32 v19, vcc_lo, s4, v10
	v_add_co_ci_u32_e32 v20, vcc_lo, s5, v11, vcc_lo
.LBB2_11:                               ; =>This Inner Loop Header: Depth=1
	s_cmp_ge_i32 s40, s23
	s_cselect_b32 s4, -1, 0
	s_delay_alu instid0(SALU_CYCLE_1) | instskip(NEXT) | instid1(SALU_CYCLE_1)
	s_or_b32 s4, s2, s4
	s_or_b32 s4, s4, s0
	s_delay_alu instid0(SALU_CYCLE_1) | instskip(NEXT) | instid1(SALU_CYCLE_1)
	s_xor_b32 s5, s4, -1
	s_and_saveexec_b32 s4, s5
	s_cbranch_execz .LBB2_13
; %bb.12:                               ;   in Loop: Header=BB2_11 Depth=1
	s_abs_i32 s6, s40
	s_ashr_i32 s5, s40, 31
	s_mul_hi_u32 s8, s6, s37
	s_lshr_b32 s7, s5, 29
	s_mul_i32 s9, s8, s36
	s_add_i32 s7, s40, s7
	s_sub_i32 s6, s6, s9
	s_ashr_i32 s7, s7, 3
	s_xor_b32 s5, s5, s22
	s_add_i32 s9, s8, 1
	s_sub_i32 s10, s6, s36
	s_cmp_ge_u32 s6, s36
	v_add_nc_u32_e32 v13, s7, v21
	s_cselect_b32 s8, s9, s8
	s_cselect_b32 s6, s10, s6
	s_add_i32 s9, s8, 1
	s_cmp_ge_u32 s6, s36
	v_mad_u64_u32 v[11:12], null, v13, s21, v[17:18]
	s_cselect_b32 s6, s9, s8
	s_delay_alu instid0(SALU_CYCLE_1) | instskip(NEXT) | instid1(SALU_CYCLE_1)
	s_xor_b32 s6, s6, s5
	s_sub_i32 s5, s6, s5
	s_delay_alu instid0(SALU_CYCLE_1) | instskip(NEXT) | instid1(VALU_DEP_2)
	v_mad_u64_u32 v[9:10], null, s5, s34, v[18:19]
	v_ashrrev_i32_e32 v12, 31, v11
	v_mad_u64_u32 v[13:14], null, s5, s21, v[17:18]
	s_lshl_b32 s5, s42, 9
	s_delay_alu instid0(VALU_DEP_2) | instskip(NEXT) | instid1(VALU_DEP_4)
	v_lshlrev_b64 v[11:12], 2, v[11:12]
	v_ashrrev_i32_e32 v10, 31, v9
	s_delay_alu instid0(VALU_DEP_3) | instskip(NEXT) | instid1(VALU_DEP_2)
	v_ashrrev_i32_e32 v14, 31, v13
	v_lshlrev_b64 v[9:10], 2, v[9:10]
	s_delay_alu instid0(VALU_DEP_1) | instskip(NEXT) | instid1(VALU_DEP_2)
	v_add_co_u32 v9, vcc_lo, s26, v9
	v_add_co_ci_u32_e32 v10, vcc_lo, s27, v10, vcc_lo
	global_load_b32 v15, v[9:10], off
	v_add_co_u32 v9, vcc_lo, s24, v11
	v_add_co_ci_u32_e32 v10, vcc_lo, s25, v12, vcc_lo
	global_load_b32 v11, v[9:10], off
	v_lshlrev_b64 v[9:10], 1, v[13:14]
	s_delay_alu instid0(VALU_DEP_1) | instskip(NEXT) | instid1(VALU_DEP_2)
	v_add_co_u32 v9, vcc_lo, s30, v9
	v_add_co_ci_u32_e32 v10, vcc_lo, s31, v10, vcc_lo
	global_load_u16 v9, v[9:10], off
	s_waitcnt vmcnt(2)
	v_bfe_u32 v10, v15, v24, 4
	v_subrev_nc_u32_e32 v15, s5, v25
	s_delay_alu instid0(VALU_DEP_2) | instskip(NEXT) | instid1(VALU_DEP_2)
	v_add_nc_u32_e32 v10, s33, v10
	v_lshl_or_b32 v15, v22, 1, v15
	s_waitcnt vmcnt(1)
	v_lshrrev_b32_e32 v13, 4, v11
	v_lshrrev_b32_e32 v14, 8, v11
	v_and_or_b32 v12, v11, s41, 0x64006400
	v_lshrrev_b32_e32 v11, 12, v11
	v_or_b32_e32 v10, 0x6400, v10
	v_and_or_b32 v13, v13, s41, 0x64006400
	v_and_or_b32 v14, v14, s41, 0x64006400
	s_delay_alu instid0(VALU_DEP_4) | instskip(NEXT) | instid1(VALU_DEP_4)
	v_and_or_b32 v11, v11, s41, 0x64006400
	v_pk_add_f16 v12, v12, v10 op_sel_hi:[1,0] neg_lo:[0,1] neg_hi:[0,1]
	s_delay_alu instid0(VALU_DEP_4) | instskip(NEXT) | instid1(VALU_DEP_4)
	v_pk_add_f16 v13, v13, v10 op_sel_hi:[1,0] neg_lo:[0,1] neg_hi:[0,1]
	v_pk_add_f16 v14, v14, v10 op_sel_hi:[1,0] neg_lo:[0,1] neg_hi:[0,1]
	s_delay_alu instid0(VALU_DEP_4)
	v_pk_add_f16 v10, v11, v10 op_sel_hi:[1,0] neg_lo:[0,1] neg_hi:[0,1]
	s_waitcnt vmcnt(0)
	v_pk_mul_f16 v11, v9, v12 op_sel_hi:[0,1]
	v_pk_mul_f16 v12, v9, v13 op_sel_hi:[0,1]
	;; [unrolled: 1-line block ×4, first 2 shown]
	ds_store_b16 v15, v11 offset:512
	ds_store_b16_d16_hi v15, v11 offset:544
	ds_store_b16 v15, v12 offset:576
	ds_store_b16_d16_hi v15, v12 offset:608
	;; [unrolled: 2-line block ×4, first 2 shown]
.LBB2_13:                               ;   in Loop: Header=BB2_11 Depth=1
	s_or_b32 exec_lo, exec_lo, s4
	v_dual_mov_b32 v9, 0 :: v_dual_mov_b32 v10, 0
	v_dual_mov_b32 v11, 0 :: v_dual_mov_b32 v12, 0
	;; [unrolled: 1-line block ×4, first 2 shown]
	s_and_saveexec_b32 s43, s1
	s_cbranch_execz .LBB2_17
; %bb.14:                               ;   in Loop: Header=BB2_11 Depth=1
	s_and_not1_b32 vcc_lo, exec_lo, s35
	s_cbranch_vccnz .LBB2_19
; %bb.15:                               ;   in Loop: Header=BB2_11 Depth=1
	s_add_u32 s4, s38, 0xffffffc4
	s_addc_u32 s5, s39, -1
	s_load_b512 s[4:19], s[4:5], 0x0
	s_waitcnt lgkmcnt(0)
	s_ashr_i32 s45, s4, 31
	s_mov_b32 s44, s4
	s_ashr_i32 s47, s6, 31
	s_lshl_b64 s[44:45], s[44:45], 1
	s_mov_b32 s46, s6
	v_add_co_u32 v9, vcc_lo, v26, s44
	s_lshl_b64 s[46:47], s[46:47], 1
	s_ashr_i32 s49, s8, 31
	s_mov_b32 s48, s8
	v_add_co_ci_u32_e32 v10, vcc_lo, s45, v27, vcc_lo
	v_add_co_u32 v11, vcc_lo, v26, s46
	s_lshl_b64 s[48:49], s[48:49], 1
	s_ashr_i32 s51, s10, 31
	s_mov_b32 s50, s10
	v_add_co_ci_u32_e32 v12, vcc_lo, s47, v27, vcc_lo
	v_add_co_u32 v13, vcc_lo, v26, s48
	s_lshl_b64 s[50:51], s[50:51], 1
	s_ashr_i32 s53, s12, 31
	v_add_co_ci_u32_e32 v14, vcc_lo, s49, v27, vcc_lo
	s_mov_b32 s52, s12
	v_add_co_u32 v15, vcc_lo, v26, s50
	s_lshl_b64 s[44:45], s[52:53], 1
	v_add_co_ci_u32_e32 v16, vcc_lo, s51, v27, vcc_lo
	s_ashr_i32 s47, s14, 31
	s_mov_b32 s46, s14
	v_add_co_u32 v28, vcc_lo, v26, s44
	v_add_co_ci_u32_e32 v29, vcc_lo, s45, v27, vcc_lo
	s_lshl_b64 s[44:45], s[46:47], 1
	s_ashr_i32 s47, s16, 31
	s_mov_b32 s46, s16
	v_add_co_u32 v30, vcc_lo, v26, s44
	v_add_co_ci_u32_e32 v31, vcc_lo, s45, v27, vcc_lo
	s_lshl_b64 s[44:45], s[46:47], 1
	;; [unrolled: 5-line block ×3, first 2 shown]
	s_mov_b32 s4, s7
	v_add_co_u32 v34, vcc_lo, v26, s44
	v_add_co_ci_u32_e32 v35, vcc_lo, s45, v27, vcc_lo
	s_clause 0x7
	global_load_u16 v9, v[9:10], off
	global_load_u16 v10, v[11:12], off
	;; [unrolled: 1-line block ×8, first 2 shown]
	s_ashr_i32 s45, s5, 31
	s_mov_b32 s44, s5
	s_ashr_i32 s5, s7, 31
	s_ashr_i32 s7, s9, 31
	s_mov_b32 s6, s9
	s_ashr_i32 s9, s11, 31
	s_mov_b32 s8, s11
	;; [unrolled: 2-line block ×6, first 2 shown]
	s_lshl_b64 s[18:19], s[44:45], 1
	s_lshl_b64 s[4:5], s[4:5], 1
	v_add_co_u32 v28, vcc_lo, v26, s18
	v_add_co_ci_u32_e32 v29, vcc_lo, s19, v27, vcc_lo
	v_add_co_u32 v30, vcc_lo, v26, s4
	s_lshl_b64 s[6:7], s[6:7], 1
	v_add_co_ci_u32_e32 v31, vcc_lo, s5, v27, vcc_lo
	v_add_co_u32 v32, vcc_lo, v26, s6
	s_lshl_b64 s[8:9], s[8:9], 1
	v_add_co_ci_u32_e32 v33, vcc_lo, s7, v27, vcc_lo
	v_add_co_u32 v34, vcc_lo, v26, s8
	s_lshl_b64 s[10:11], s[10:11], 1
	v_add_co_ci_u32_e32 v35, vcc_lo, s9, v27, vcc_lo
	v_add_co_u32 v36, vcc_lo, v26, s10
	s_lshl_b64 s[12:13], s[12:13], 1
	v_add_co_ci_u32_e32 v37, vcc_lo, s11, v27, vcc_lo
	v_add_co_u32 v38, vcc_lo, v26, s12
	s_lshl_b64 s[14:15], s[14:15], 1
	v_add_co_ci_u32_e32 v39, vcc_lo, s13, v27, vcc_lo
	v_add_co_u32 v40, vcc_lo, v26, s14
	s_lshl_b64 s[16:17], s[16:17], 1
	v_add_co_ci_u32_e32 v41, vcc_lo, s15, v27, vcc_lo
	v_add_co_u32 v42, vcc_lo, v26, s16
	v_add_co_ci_u32_e32 v43, vcc_lo, s17, v27, vcc_lo
	s_clause 0x7
	global_load_d16_hi_b16 v9, v[28:29], off
	global_load_d16_hi_b16 v10, v[30:31], off
	;; [unrolled: 1-line block ×8, first 2 shown]
	s_cbranch_execnz .LBB2_17
.LBB2_16:                               ;   in Loop: Header=BB2_11 Depth=1
	s_clause 0x1
	global_load_b128 v[9:12], v[19:20], off
	global_load_b128 v[13:16], v[19:20], off offset:16
.LBB2_17:                               ;   in Loop: Header=BB2_11 Depth=1
	s_or_b32 exec_lo, exec_lo, s43
	v_lshlrev_b32_e32 v28, 1, v22
	v_add_co_u32 v19, vcc_lo, v19, 32
	v_add_co_ci_u32_e32 v20, vcc_lo, 0, v20, vcc_lo
	s_delay_alu instid0(VALU_DEP_3)
	v_lshl_or_b32 v36, s42, 9, v28
	s_sub_i32 s42, 1, s42
	s_add_u32 s38, s38, 64
	s_addc_u32 s39, s39, 0
	s_add_i32 s4, s40, 16
	ds_load_u16 v28, v36
	ds_load_u16 v29, v36 offset:64
	ds_load_u16 v30, v36 offset:128
	;; [unrolled: 1-line block ×7, first 2 shown]
	s_cmp_ge_i32 s40, s23
	s_waitcnt lgkmcnt(7)
	ds_load_u16_d16_hi v28, v36 offset:32
	s_waitcnt lgkmcnt(7)
	ds_load_u16_d16_hi v29, v36 offset:96
	;; [unrolled: 2-line block ×8, first 2 shown]
	s_waitcnt vmcnt(0) lgkmcnt(0)
	s_barrier
	buffer_gl0_inv
	v_wmma_f32_16x16x16_f16 v[1:8], v[9:16], v[28:35], v[1:8]
	s_cbranch_scc1 .LBB2_20
; %bb.18:                               ;   in Loop: Header=BB2_11 Depth=1
	s_mov_b32 s40, s4
	s_branch .LBB2_11
.LBB2_19:                               ;   in Loop: Header=BB2_11 Depth=1
                                        ; implicit-def: $vgpr16
	s_branch .LBB2_16
.LBB2_20:
	v_mov_b32_e32 v13, v23
	s_cmp_lt_u32 s3, 2
	s_mov_b32 s0, -1
	s_cbranch_scc0 .LBB2_9
.LBB2_21:
	s_mov_b32 s0, exec_lo
	v_cmpx_gt_i32_e64 s21, v17
	s_cbranch_execz .LBB2_38
; %bb.22:
	v_ashrrev_i32_e32 v18, 31, v17
	v_or_b32_e32 v11, v13, v21
	s_mov_b32 s1, exec_lo
	s_delay_alu instid0(VALU_DEP_2) | instskip(SKIP_1) | instid1(VALU_DEP_1)
	v_lshlrev_b64 v[9:10], 1, v[17:18]
	s_waitcnt lgkmcnt(0)
	v_add_co_u32 v9, vcc_lo, s28, v9
	s_delay_alu instid0(VALU_DEP_2)
	v_add_co_ci_u32_e32 v10, vcc_lo, s29, v10, vcc_lo
	v_cmpx_gt_i32_e64 s20, v11
	s_cbranch_execz .LBB2_24
; %bb.23:
	v_mul_lo_u32 v11, v11, s21
	v_cvt_f16_f32_e32 v14, v1
	s_delay_alu instid0(VALU_DEP_2) | instskip(NEXT) | instid1(VALU_DEP_1)
	v_ashrrev_i32_e32 v12, 31, v11
	v_lshlrev_b64 v[11:12], 1, v[11:12]
	s_delay_alu instid0(VALU_DEP_1) | instskip(NEXT) | instid1(VALU_DEP_2)
	v_add_co_u32 v11, vcc_lo, v9, v11
	v_add_co_ci_u32_e32 v12, vcc_lo, v10, v12, vcc_lo
	global_store_b16 v[11:12], v14, off
.LBB2_24:
	s_or_b32 exec_lo, exec_lo, s1
	v_add3_u32 v11, v13, v21, 2
	s_mov_b32 s1, exec_lo
	s_delay_alu instid0(VALU_DEP_1)
	v_cmpx_gt_i32_e64 s20, v11
	s_cbranch_execz .LBB2_26
; %bb.25:
	v_mul_lo_u32 v11, v11, s21
	v_cvt_f16_f32_e32 v14, v2
	s_delay_alu instid0(VALU_DEP_2) | instskip(NEXT) | instid1(VALU_DEP_1)
	v_ashrrev_i32_e32 v12, 31, v11
	v_lshlrev_b64 v[11:12], 1, v[11:12]
	s_delay_alu instid0(VALU_DEP_1) | instskip(NEXT) | instid1(VALU_DEP_2)
	v_add_co_u32 v11, vcc_lo, v9, v11
	v_add_co_ci_u32_e32 v12, vcc_lo, v10, v12, vcc_lo
	global_store_b16 v[11:12], v14, off
.LBB2_26:
	s_or_b32 exec_lo, exec_lo, s1
	v_add3_u32 v11, v13, v21, 4
	s_mov_b32 s1, exec_lo
	s_delay_alu instid0(VALU_DEP_1)
	;; [unrolled: 17-line block ×6, first 2 shown]
	v_cmpx_gt_i32_e64 s20, v11
	s_cbranch_execz .LBB2_36
; %bb.35:
	v_mul_lo_u32 v11, v11, s21
	v_cvt_f16_f32_e32 v14, v7
	s_delay_alu instid0(VALU_DEP_2) | instskip(NEXT) | instid1(VALU_DEP_1)
	v_ashrrev_i32_e32 v12, 31, v11
	v_lshlrev_b64 v[11:12], 1, v[11:12]
	s_delay_alu instid0(VALU_DEP_1) | instskip(NEXT) | instid1(VALU_DEP_2)
	v_add_co_u32 v11, vcc_lo, v9, v11
	v_add_co_ci_u32_e32 v12, vcc_lo, v10, v12, vcc_lo
	global_store_b16 v[11:12], v14, off
.LBB2_36:
	s_or_b32 exec_lo, exec_lo, s1
	v_add3_u32 v11, v13, v21, 14
	s_delay_alu instid0(VALU_DEP_1)
	v_cmp_gt_i32_e32 vcc_lo, s20, v11
	s_and_b32 exec_lo, exec_lo, vcc_lo
	s_cbranch_execz .LBB2_38
; %bb.37:
	v_mul_lo_u32 v11, v11, s21
	s_delay_alu instid0(VALU_DEP_1) | instskip(NEXT) | instid1(VALU_DEP_1)
	v_ashrrev_i32_e32 v12, 31, v11
	v_lshlrev_b64 v[11:12], 1, v[11:12]
	s_delay_alu instid0(VALU_DEP_1) | instskip(NEXT) | instid1(VALU_DEP_2)
	v_add_co_u32 v9, vcc_lo, v9, v11
	v_add_co_ci_u32_e32 v10, vcc_lo, v10, v12, vcc_lo
	v_cvt_f16_f32_e32 v11, v8
	global_store_b16 v[9:10], v11, off
.LBB2_38:
	s_or_b32 exec_lo, exec_lo, s0
	s_cbranch_execnz .LBB2_71
.LBB2_39:
	v_mbcnt_lo_u32_b32 v9, -1, 0
	v_ashrrev_i32_e32 v18, 31, v17
	v_and_b32_e32 v0, 1, v0
	s_delay_alu instid0(VALU_DEP_3) | instskip(NEXT) | instid1(VALU_DEP_2)
	v_xor_b32_e32 v10, 1, v9
	v_cmp_eq_u32_e64 s0, 0, v0
	s_delay_alu instid0(VALU_DEP_2) | instskip(SKIP_2) | instid1(VALU_DEP_2)
	v_cmp_gt_i32_e32 vcc_lo, 32, v10
	v_cndmask_b32_e32 v9, v9, v10, vcc_lo
	v_cmp_gt_i32_e32 vcc_lo, s21, v17
	v_lshlrev_b32_e32 v16, 2, v9
	v_lshlrev_b64 v[9:10], 1, v[17:18]
	ds_bpermute_b32 v11, v16, v1
	s_waitcnt lgkmcnt(0)
	v_add_co_u32 v14, s1, s28, v9
	s_delay_alu instid0(VALU_DEP_1)
	v_add_co_ci_u32_e64 v15, s1, s29, v10, s1
	s_and_saveexec_b32 s2, s0
	s_cbranch_execz .LBB2_43
; %bb.40:
	v_or_b32_e32 v0, v13, v21
	s_delay_alu instid0(VALU_DEP_1) | instskip(NEXT) | instid1(VALU_DEP_1)
	v_cmp_gt_i32_e64 s1, s20, v0
	s_and_b32 s1, s1, vcc_lo
	s_delay_alu instid0(SALU_CYCLE_1)
	s_and_b32 exec_lo, exec_lo, s1
	s_cbranch_execz .LBB2_43
; %bb.41:
	v_mul_lo_u32 v9, v0, s21
	v_cvt_f16_f32_e32 v0, v1
	v_cvt_f16_f32_e32 v1, v11
	s_mov_b32 s3, 0
	s_delay_alu instid0(VALU_DEP_1) | instskip(NEXT) | instid1(VALU_DEP_4)
	v_pack_b32_f16 v0, v0, v1
	v_ashrrev_i32_e32 v10, 31, v9
	s_delay_alu instid0(VALU_DEP_1) | instskip(NEXT) | instid1(VALU_DEP_1)
	v_lshlrev_b64 v[9:10], 1, v[9:10]
	v_add_co_u32 v9, s1, v14, v9
	s_delay_alu instid0(VALU_DEP_1)
	v_add_co_ci_u32_e64 v10, s1, v15, v10, s1
	global_load_b32 v12, v[9:10], off
.LBB2_42:                               ; =>This Inner Loop Header: Depth=1
	s_waitcnt vmcnt(0)
	v_pk_add_f16 v11, v0, v12
	global_atomic_cmpswap_b32 v1, v[9:10], v[11:12], off glc
	s_waitcnt vmcnt(0)
	v_cmp_eq_u32_e64 s1, v1, v12
	v_mov_b32_e32 v12, v1
	s_delay_alu instid0(VALU_DEP_2) | instskip(NEXT) | instid1(SALU_CYCLE_1)
	s_or_b32 s3, s1, s3
	s_and_not1_b32 exec_lo, exec_lo, s3
	s_cbranch_execnz .LBB2_42
.LBB2_43:
	s_or_b32 exec_lo, exec_lo, s2
	ds_bpermute_b32 v9, v16, v2
	s_and_saveexec_b32 s2, s0
	s_cbranch_execz .LBB2_47
; %bb.44:
	v_add3_u32 v0, v13, v21, 2
	s_delay_alu instid0(VALU_DEP_1) | instskip(NEXT) | instid1(VALU_DEP_1)
	v_cmp_gt_i32_e64 s1, s20, v0
	s_and_b32 s1, s1, vcc_lo
	s_delay_alu instid0(SALU_CYCLE_1)
	s_and_b32 exec_lo, exec_lo, s1
	s_cbranch_execz .LBB2_47
; %bb.45:
	v_mul_lo_u32 v0, v0, s21
	v_cvt_f16_f32_e32 v2, v2
	s_waitcnt lgkmcnt(0)
	v_cvt_f16_f32_e32 v9, v9
	s_mov_b32 s3, 0
	s_delay_alu instid0(VALU_DEP_1) | instskip(NEXT) | instid1(VALU_DEP_4)
	v_pack_b32_f16 v2, v2, v9
	v_ashrrev_i32_e32 v1, 31, v0
	s_delay_alu instid0(VALU_DEP_1) | instskip(NEXT) | instid1(VALU_DEP_1)
	v_lshlrev_b64 v[0:1], 1, v[0:1]
	v_add_co_u32 v0, s1, v14, v0
	s_delay_alu instid0(VALU_DEP_1)
	v_add_co_ci_u32_e64 v1, s1, v15, v1, s1
	global_load_b32 v10, v[0:1], off
.LBB2_46:                               ; =>This Inner Loop Header: Depth=1
	s_waitcnt vmcnt(0)
	v_pk_add_f16 v9, v2, v10
	global_atomic_cmpswap_b32 v9, v[0:1], v[9:10], off glc
	s_waitcnt vmcnt(0)
	v_cmp_eq_u32_e64 s1, v9, v10
	v_mov_b32_e32 v10, v9
	s_delay_alu instid0(VALU_DEP_2) | instskip(NEXT) | instid1(SALU_CYCLE_1)
	s_or_b32 s3, s1, s3
	s_and_not1_b32 exec_lo, exec_lo, s3
	s_cbranch_execnz .LBB2_46
.LBB2_47:
	s_or_b32 exec_lo, exec_lo, s2
	ds_bpermute_b32 v2, v16, v3
	s_and_saveexec_b32 s2, s0
	s_cbranch_execz .LBB2_51
; %bb.48:
	v_add3_u32 v0, v13, v21, 4
	s_delay_alu instid0(VALU_DEP_1) | instskip(NEXT) | instid1(VALU_DEP_1)
	v_cmp_gt_i32_e64 s1, s20, v0
	s_and_b32 s1, s1, vcc_lo
	s_delay_alu instid0(SALU_CYCLE_1)
	s_and_b32 exec_lo, exec_lo, s1
	s_cbranch_execz .LBB2_51
; %bb.49:
	v_mul_lo_u32 v0, v0, s21
	v_cvt_f16_f32_e32 v3, v3
	s_waitcnt lgkmcnt(0)
	v_cvt_f16_f32_e32 v2, v2
	s_mov_b32 s3, 0
	s_delay_alu instid0(VALU_DEP_1) | instskip(NEXT) | instid1(VALU_DEP_4)
	v_pack_b32_f16 v2, v3, v2
	v_ashrrev_i32_e32 v1, 31, v0
	s_delay_alu instid0(VALU_DEP_1) | instskip(NEXT) | instid1(VALU_DEP_1)
	v_lshlrev_b64 v[0:1], 1, v[0:1]
	v_add_co_u32 v0, s1, v14, v0
	s_delay_alu instid0(VALU_DEP_1)
	v_add_co_ci_u32_e64 v1, s1, v15, v1, s1
	global_load_b32 v10, v[0:1], off
.LBB2_50:                               ; =>This Inner Loop Header: Depth=1
	s_waitcnt vmcnt(0)
	v_pk_add_f16 v9, v2, v10
	global_atomic_cmpswap_b32 v3, v[0:1], v[9:10], off glc
	s_waitcnt vmcnt(0)
	v_cmp_eq_u32_e64 s1, v3, v10
	v_mov_b32_e32 v10, v3
	s_delay_alu instid0(VALU_DEP_2) | instskip(NEXT) | instid1(SALU_CYCLE_1)
	s_or_b32 s3, s1, s3
	s_and_not1_b32 exec_lo, exec_lo, s3
	s_cbranch_execnz .LBB2_50
.LBB2_51:
	s_or_b32 exec_lo, exec_lo, s2
	s_waitcnt lgkmcnt(0)
	ds_bpermute_b32 v2, v16, v4
	s_and_saveexec_b32 s2, s0
	s_cbranch_execz .LBB2_55
; %bb.52:
	v_add3_u32 v0, v13, v21, 6
	s_delay_alu instid0(VALU_DEP_1) | instskip(NEXT) | instid1(VALU_DEP_1)
	v_cmp_gt_i32_e64 s1, s20, v0
	s_and_b32 s1, s1, vcc_lo
	s_delay_alu instid0(SALU_CYCLE_1)
	s_and_b32 exec_lo, exec_lo, s1
	s_cbranch_execz .LBB2_55
; %bb.53:
	v_mul_lo_u32 v0, v0, s21
	v_cvt_f16_f32_e32 v4, v4
	s_waitcnt lgkmcnt(0)
	v_cvt_f16_f32_e32 v2, v2
	s_mov_b32 s3, 0
	s_delay_alu instid0(VALU_DEP_1) | instskip(NEXT) | instid1(VALU_DEP_4)
	v_pack_b32_f16 v4, v4, v2
	v_ashrrev_i32_e32 v1, 31, v0
	s_delay_alu instid0(VALU_DEP_1) | instskip(NEXT) | instid1(VALU_DEP_1)
	v_lshlrev_b64 v[0:1], 1, v[0:1]
	v_add_co_u32 v0, s1, v14, v0
	s_delay_alu instid0(VALU_DEP_1)
	v_add_co_ci_u32_e64 v1, s1, v15, v1, s1
	global_load_b32 v3, v[0:1], off
.LBB2_54:                               ; =>This Inner Loop Header: Depth=1
	s_waitcnt vmcnt(0)
	v_pk_add_f16 v2, v4, v3
	global_atomic_cmpswap_b32 v2, v[0:1], v[2:3], off glc
	s_waitcnt vmcnt(0)
	v_cmp_eq_u32_e64 s1, v2, v3
	v_mov_b32_e32 v3, v2
	s_delay_alu instid0(VALU_DEP_2) | instskip(NEXT) | instid1(SALU_CYCLE_1)
	s_or_b32 s3, s1, s3
	s_and_not1_b32 exec_lo, exec_lo, s3
	s_cbranch_execnz .LBB2_54
.LBB2_55:
	s_or_b32 exec_lo, exec_lo, s2
	s_waitcnt lgkmcnt(0)
	;; [unrolled: 40-line block ×5, first 2 shown]
	ds_bpermute_b32 v2, v16, v8
	s_and_saveexec_b32 s1, s0
	s_cbranch_execz .LBB2_71
; %bb.68:
	v_add3_u32 v0, v13, v21, 14
	s_delay_alu instid0(VALU_DEP_1) | instskip(NEXT) | instid1(VALU_DEP_1)
	v_cmp_gt_i32_e64 s0, s20, v0
	s_and_b32 s0, s0, vcc_lo
	s_delay_alu instid0(SALU_CYCLE_1)
	s_and_b32 exec_lo, exec_lo, s0
	s_cbranch_execz .LBB2_71
; %bb.69:
	v_mul_lo_u32 v0, v0, s21
	v_cvt_f16_f32_e32 v4, v8
	s_waitcnt lgkmcnt(0)
	v_cvt_f16_f32_e32 v2, v2
	s_mov_b32 s0, 0
	s_delay_alu instid0(VALU_DEP_1) | instskip(NEXT) | instid1(VALU_DEP_4)
	v_pack_b32_f16 v4, v4, v2
	v_ashrrev_i32_e32 v1, 31, v0
	s_delay_alu instid0(VALU_DEP_1) | instskip(NEXT) | instid1(VALU_DEP_1)
	v_lshlrev_b64 v[0:1], 1, v[0:1]
	v_add_co_u32 v0, vcc_lo, v14, v0
	s_delay_alu instid0(VALU_DEP_2)
	v_add_co_ci_u32_e32 v1, vcc_lo, v15, v1, vcc_lo
	global_load_b32 v3, v[0:1], off
.LBB2_70:                               ; =>This Inner Loop Header: Depth=1
	s_waitcnt vmcnt(0)
	v_pk_add_f16 v2, v4, v3
	global_atomic_cmpswap_b32 v2, v[0:1], v[2:3], off glc
	s_waitcnt vmcnt(0)
	v_cmp_eq_u32_e32 vcc_lo, v2, v3
	v_mov_b32_e32 v3, v2
	s_or_b32 s0, vcc_lo, s0
	s_delay_alu instid0(SALU_CYCLE_1)
	s_and_not1_b32 exec_lo, exec_lo, s0
	s_cbranch_execnz .LBB2_70
.LBB2_71:
	s_nop 0
	s_sendmsg sendmsg(MSG_DEALLOC_VGPRS)
	s_endpgm
	.section	.rodata,"a",@progbits
	.p2align	6, 0x0
	.amdhsa_kernel _ZN4vllm15gptq_rdna3_wmma28gemm_q4_wmma_kernel_64x16_4wI6__halfEEvPKT_PKjS7_S5_PS3_iiiiiPKi
		.amdhsa_group_segment_fixed_size 1024
		.amdhsa_private_segment_fixed_size 0
		.amdhsa_kernarg_size 328
		.amdhsa_user_sgpr_count 13
		.amdhsa_user_sgpr_dispatch_ptr 0
		.amdhsa_user_sgpr_queue_ptr 0
		.amdhsa_user_sgpr_kernarg_segment_ptr 1
		.amdhsa_user_sgpr_dispatch_id 0
		.amdhsa_user_sgpr_private_segment_size 0
		.amdhsa_wavefront_size32 1
		.amdhsa_uses_dynamic_stack 0
		.amdhsa_enable_private_segment 0
		.amdhsa_system_sgpr_workgroup_id_x 1
		.amdhsa_system_sgpr_workgroup_id_y 1
		.amdhsa_system_sgpr_workgroup_id_z 1
		.amdhsa_system_sgpr_workgroup_info 0
		.amdhsa_system_vgpr_workitem_id 0
		.amdhsa_next_free_vgpr 44
		.amdhsa_next_free_sgpr 54
		.amdhsa_reserve_vcc 1
		.amdhsa_float_round_mode_32 0
		.amdhsa_float_round_mode_16_64 0
		.amdhsa_float_denorm_mode_32 3
		.amdhsa_float_denorm_mode_16_64 3
		.amdhsa_dx10_clamp 1
		.amdhsa_ieee_mode 1
		.amdhsa_fp16_overflow 0
		.amdhsa_workgroup_processor_mode 1
		.amdhsa_memory_ordered 1
		.amdhsa_forward_progress 0
		.amdhsa_shared_vgpr_count 0
		.amdhsa_exception_fp_ieee_invalid_op 0
		.amdhsa_exception_fp_denorm_src 0
		.amdhsa_exception_fp_ieee_div_zero 0
		.amdhsa_exception_fp_ieee_overflow 0
		.amdhsa_exception_fp_ieee_underflow 0
		.amdhsa_exception_fp_ieee_inexact 0
		.amdhsa_exception_int_div_zero 0
	.end_amdhsa_kernel
	.section	.text._ZN4vllm15gptq_rdna3_wmma28gemm_q4_wmma_kernel_64x16_4wI6__halfEEvPKT_PKjS7_S5_PS3_iiiiiPKi,"axG",@progbits,_ZN4vllm15gptq_rdna3_wmma28gemm_q4_wmma_kernel_64x16_4wI6__halfEEvPKT_PKjS7_S5_PS3_iiiiiPKi,comdat
.Lfunc_end2:
	.size	_ZN4vllm15gptq_rdna3_wmma28gemm_q4_wmma_kernel_64x16_4wI6__halfEEvPKT_PKjS7_S5_PS3_iiiiiPKi, .Lfunc_end2-_ZN4vllm15gptq_rdna3_wmma28gemm_q4_wmma_kernel_64x16_4wI6__halfEEvPKT_PKjS7_S5_PS3_iiiiiPKi
                                        ; -- End function
	.section	.AMDGPU.csdata,"",@progbits
; Kernel info:
; codeLenInByte = 5152
; NumSgprs: 56
; NumVgprs: 44
; ScratchSize: 0
; MemoryBound: 1
; FloatMode: 240
; IeeeMode: 1
; LDSByteSize: 1024 bytes/workgroup (compile time only)
; SGPRBlocks: 6
; VGPRBlocks: 5
; NumSGPRsForWavesPerEU: 56
; NumVGPRsForWavesPerEU: 44
; Occupancy: 16
; WaveLimiterHint : 1
; COMPUTE_PGM_RSRC2:SCRATCH_EN: 0
; COMPUTE_PGM_RSRC2:USER_SGPR: 13
; COMPUTE_PGM_RSRC2:TRAP_HANDLER: 0
; COMPUTE_PGM_RSRC2:TGID_X_EN: 1
; COMPUTE_PGM_RSRC2:TGID_Y_EN: 1
; COMPUTE_PGM_RSRC2:TGID_Z_EN: 1
; COMPUTE_PGM_RSRC2:TIDIG_COMP_CNT: 0
	.section	.text._ZN4vllm15gptq_rdna3_wmma28gemm_q4_wmma_kernel_64x32_4wI6__halfEEvPKT_PKjS7_S5_PS3_iiiiiPKi,"axG",@progbits,_ZN4vllm15gptq_rdna3_wmma28gemm_q4_wmma_kernel_64x32_4wI6__halfEEvPKT_PKjS7_S5_PS3_iiiiiPKi,comdat
	.protected	_ZN4vllm15gptq_rdna3_wmma28gemm_q4_wmma_kernel_64x32_4wI6__halfEEvPKT_PKjS7_S5_PS3_iiiiiPKi ; -- Begin function _ZN4vllm15gptq_rdna3_wmma28gemm_q4_wmma_kernel_64x32_4wI6__halfEEvPKT_PKjS7_S5_PS3_iiiiiPKi
	.globl	_ZN4vllm15gptq_rdna3_wmma28gemm_q4_wmma_kernel_64x32_4wI6__halfEEvPKT_PKjS7_S5_PS3_iiiiiPKi
	.p2align	8
	.type	_ZN4vllm15gptq_rdna3_wmma28gemm_q4_wmma_kernel_64x32_4wI6__halfEEvPKT_PKjS7_S5_PS3_iiiiiPKi,@function
_ZN4vllm15gptq_rdna3_wmma28gemm_q4_wmma_kernel_64x32_4wI6__halfEEvPKT_PKjS7_S5_PS3_iiiiiPKi: ; @_ZN4vllm15gptq_rdna3_wmma28gemm_q4_wmma_kernel_64x32_4wI6__halfEEvPKT_PKjS7_S5_PS3_iiiiiPKi
; %bb.0:
	s_load_b128 s[20:23], s[0:1], 0x28
	s_lshl_b32 s6, s14, 6
	s_lshl_b32 s3, s13, 5
	s_waitcnt lgkmcnt(0)
	s_cmp_ge_i32 s6, s20
	s_cselect_b32 s2, -1, 0
	s_cmp_ge_i32 s3, s21
	s_cselect_b32 s4, -1, 0
	s_delay_alu instid0(SALU_CYCLE_1) | instskip(NEXT) | instid1(SALU_CYCLE_1)
	s_or_b32 s2, s2, s4
	s_and_b32 vcc_lo, exec_lo, s2
	s_cbranch_vccnz .LBB3_125
; %bb.1:
	s_abs_i32 s2, s23
	s_clause 0x1
	s_load_b32 s33, s[0:1], 0x50
	s_load_b32 s34, s[0:1], 0x38
	v_cvt_f32_u32_e32 v1, s2
	s_sub_i32 s5, 0, s2
	s_abs_i32 s7, s22
	s_clause 0x1
	s_load_b128 s[24:27], s[0:1], 0x8
	s_load_b64 s[30:31], s[0:1], 0x18
	v_and_b32_e32 v29, 15, v0
	v_rcp_iflag_f32_e32 v1, v1
	v_bfe_u32 v30, v0, 4, 1
	s_waitcnt_depctr 0xfff
	v_mul_f32_e32 v1, 0x4f7ffffe, v1
	s_waitcnt lgkmcnt(0)
	v_cvt_f32_u32_e32 v2, s33
	s_delay_alu instid0(VALU_DEP_2) | instskip(NEXT) | instid1(VALU_DEP_1)
	v_cvt_u32_f32_e32 v1, v1
	v_readfirstlane_b32 s4, v1
	s_delay_alu instid0(VALU_DEP_3) | instskip(NEXT) | instid1(VALU_DEP_1)
	v_rcp_iflag_f32_e32 v1, v2
	s_mul_i32 s5, s5, s4
	s_delay_alu instid0(SALU_CYCLE_1) | instskip(NEXT) | instid1(SALU_CYCLE_1)
	s_mul_hi_u32 s5, s4, s5
	s_add_i32 s4, s4, s5
	s_xor_b32 s5, s22, s23
	s_mul_hi_u32 s4, s7, s4
	s_waitcnt_depctr 0xfff
	v_mul_f32_e32 v1, 0x4f7ffffe, v1
	s_mul_i32 s8, s4, s2
	s_ashr_i32 s5, s5, 31
	s_sub_i32 s7, s7, s8
	s_add_i32 s8, s4, 1
	s_sub_i32 s9, s7, s2
	s_cmp_ge_u32 s7, s2
	v_cvt_u32_f32_e32 v1, v1
	s_cselect_b32 s4, s8, s4
	s_cselect_b32 s7, s9, s7
	s_add_i32 s8, s4, 1
	s_cmp_ge_u32 s7, s2
	v_readfirstlane_b32 s2, v1
	s_cselect_b32 s4, s8, s4
	s_sub_i32 s7, 0, s33
	v_lshrrev_b32_e32 v1, 5, v0
	s_delay_alu instid0(VALU_DEP_2) | instskip(NEXT) | instid1(SALU_CYCLE_1)
	s_mul_i32 s7, s7, s2
	s_mul_hi_u32 s7, s2, s7
	s_delay_alu instid0(VALU_DEP_1) | instskip(SKIP_1) | instid1(SALU_CYCLE_1)
	v_lshlrev_b32_e32 v17, 4, v1
	s_add_i32 s2, s2, s7
	s_mul_hi_u32 s7, s22, s2
	s_xor_b32 s2, s4, s5
	s_mul_i32 s4, s7, s33
	s_sub_i32 s5, s2, s5
	s_sub_i32 s4, s22, s4
	s_add_i32 s8, s7, 1
	s_sub_i32 s9, s4, s33
	s_cmp_ge_u32 s4, s33
	v_cmp_lt_u32_e64 s2, 63, v0
	s_cselect_b32 s7, s8, s7
	s_cselect_b32 s4, s9, s4
	s_add_i32 s8, s7, 1
	s_cmp_ge_u32 s4, s33
	s_cselect_b32 s10, s8, s7
	s_mov_b32 s7, exec_lo
	s_mul_i32 s4, s10, s15
	v_cmpx_gt_u32_e32 64, v0
	s_xor_b32 s7, exec_lo, s7
	s_cbranch_execz .LBB3_5
; %bb.2:
	v_lshlrev_b32_e32 v17, 4, v1
	s_mov_b32 s8, exec_lo
	s_delay_alu instid0(VALU_DEP_1) | instskip(NEXT) | instid1(VALU_DEP_1)
	v_or_b32_e32 v2, v17, v29
	v_or_b32_e32 v1, s3, v2
	s_delay_alu instid0(VALU_DEP_1)
	v_cmpx_gt_i32_e64 s21, v1
	s_cbranch_execz .LBB3_4
; %bb.3:
	s_abs_i32 s9, s5
	s_ashr_i32 s11, s4, 31
	v_cvt_f32_u32_e32 v3, s9
	s_lshr_b32 s11, s11, 29
	s_sub_i32 s15, 0, s9
	s_add_i32 s11, s4, s11
	s_abs_i32 s14, s4
	v_rcp_iflag_f32_e32 v3, v3
	s_ashr_i32 s11, s11, 3
	s_xor_b32 s13, s4, s5
	v_add_nc_u32_e32 v8, s11, v30
	s_ashr_i32 s13, s13, 31
	s_delay_alu instid0(VALU_DEP_1) | instskip(SKIP_2) | instid1(VALU_DEP_1)
	v_mad_u64_u32 v[6:7], null, v8, s21, v[1:2]
	s_waitcnt_depctr 0xfff
	v_mul_f32_e32 v3, 0x4f7ffffe, v3
	v_cvt_u32_f32_e32 v3, v3
	v_ashrrev_i32_e32 v7, 31, v6
	s_delay_alu instid0(VALU_DEP_2) | instskip(SKIP_1) | instid1(VALU_DEP_2)
	v_readfirstlane_b32 s12, v3
	v_ashrrev_i32_e32 v3, 31, v1
	s_mul_i32 s15, s15, s12
	s_delay_alu instid0(VALU_DEP_1) | instskip(SKIP_1) | instid1(SALU_CYCLE_1)
	v_lshrrev_b32_e32 v3, 29, v3
	s_mul_hi_u32 s15, s12, s15
	s_add_i32 s12, s12, s15
	s_delay_alu instid0(VALU_DEP_1) | instskip(SKIP_1) | instid1(SALU_CYCLE_1)
	v_add_nc_u32_e32 v3, v1, v3
	s_mul_hi_u32 s12, s14, s12
	s_mul_i32 s15, s12, s9
	s_delay_alu instid0(SALU_CYCLE_1)
	s_sub_i32 s14, s14, s15
	s_add_i32 s15, s12, 1
	s_sub_i32 s16, s14, s9
	s_cmp_ge_u32 s14, s9
	v_ashrrev_i32_e32 v3, 3, v3
	s_cselect_b32 s12, s15, s12
	s_cselect_b32 s14, s16, s14
	s_add_i32 s15, s12, 1
	s_cmp_ge_u32 s14, s9
	s_cselect_b32 s9, s15, s12
	s_ashr_i32 s11, s21, 31
	s_xor_b32 s9, s9, s13
	s_lshr_b32 s11, s11, 29
	s_sub_i32 s9, s9, s13
	s_add_i32 s11, s21, s11
	s_delay_alu instid0(SALU_CYCLE_1) | instskip(NEXT) | instid1(SALU_CYCLE_1)
	s_ashr_i32 s11, s11, 3
	v_mad_u64_u32 v[4:5], null, s9, s11, v[3:4]
	s_delay_alu instid0(VALU_DEP_1) | instskip(NEXT) | instid1(VALU_DEP_1)
	v_ashrrev_i32_e32 v5, 31, v4
	v_lshlrev_b64 v[3:4], 2, v[4:5]
	v_lshlrev_b64 v[5:6], 2, v[6:7]
	v_mad_u64_u32 v[7:8], null, s9, s21, v[1:2]
	s_mov_b32 s9, 0xf000f
	v_lshlrev_b32_e32 v2, 1, v2
	s_delay_alu instid0(VALU_DEP_4) | instskip(SKIP_1) | instid1(VALU_DEP_4)
	v_add_co_u32 v3, vcc_lo, s26, v3
	v_add_co_ci_u32_e32 v4, vcc_lo, s27, v4, vcc_lo
	v_ashrrev_i32_e32 v8, 31, v7
	s_delay_alu instid0(VALU_DEP_4)
	v_lshl_add_u32 v2, v30, 9, v2
	global_load_b32 v1, v[3:4], off
	v_add_co_u32 v3, vcc_lo, s24, v5
	v_add_co_ci_u32_e32 v4, vcc_lo, s25, v6, vcc_lo
	global_load_b32 v5, v[3:4], off
	v_lshlrev_b64 v[3:4], 1, v[7:8]
	s_delay_alu instid0(VALU_DEP_1) | instskip(NEXT) | instid1(VALU_DEP_2)
	v_add_co_u32 v3, vcc_lo, s30, v3
	v_add_co_ci_u32_e32 v4, vcc_lo, s31, v4, vcc_lo
	global_load_u16 v3, v[3:4], off
	v_lshlrev_b32_e32 v4, 2, v0
	s_delay_alu instid0(VALU_DEP_1) | instskip(SKIP_1) | instid1(VALU_DEP_1)
	v_and_b32_e32 v4, 28, v4
	s_waitcnt vmcnt(2)
	v_bfe_u32 v1, v1, v4, 4
	s_delay_alu instid0(VALU_DEP_1)
	v_add_nc_u32_e32 v1, s34, v1
	s_waitcnt vmcnt(1)
	v_lshrrev_b32_e32 v6, 4, v5
	v_lshrrev_b32_e32 v7, 8, v5
	v_and_or_b32 v4, v5, s9, 0x64006400
	v_lshrrev_b32_e32 v5, 12, v5
	v_or_b32_e32 v1, 0x6400, v1
	v_and_or_b32 v6, v6, s9, 0x64006400
	v_and_or_b32 v7, v7, s9, 0x64006400
	s_delay_alu instid0(VALU_DEP_4) | instskip(NEXT) | instid1(VALU_DEP_4)
	v_and_or_b32 v5, v5, s9, 0x64006400
	v_pk_add_f16 v4, v4, v1 op_sel_hi:[1,0] neg_lo:[0,1] neg_hi:[0,1]
	s_delay_alu instid0(VALU_DEP_4) | instskip(NEXT) | instid1(VALU_DEP_4)
	v_pk_add_f16 v6, v6, v1 op_sel_hi:[1,0] neg_lo:[0,1] neg_hi:[0,1]
	v_pk_add_f16 v7, v7, v1 op_sel_hi:[1,0] neg_lo:[0,1] neg_hi:[0,1]
	s_delay_alu instid0(VALU_DEP_4)
	v_pk_add_f16 v1, v5, v1 op_sel_hi:[1,0] neg_lo:[0,1] neg_hi:[0,1]
	s_waitcnt vmcnt(0)
	v_pk_mul_f16 v4, v3, v4 op_sel_hi:[0,1]
	v_pk_mul_f16 v5, v3, v6 op_sel_hi:[0,1]
	;; [unrolled: 1-line block ×4, first 2 shown]
	ds_store_b16 v2, v4
	ds_store_b16_d16_hi v2, v4 offset:64
	ds_store_b16 v2, v5 offset:128
	ds_store_b16_d16_hi v2, v5 offset:192
	ds_store_b16 v2, v6 offset:256
	;; [unrolled: 2-line block ×3, first 2 shown]
	ds_store_b16_d16_hi v2, v1 offset:448
.LBB3_4:
	s_or_b32 exec_lo, exec_lo, s8
.LBB3_5:
	s_and_not1_saveexec_b32 s7, s7
	s_delay_alu instid0(SALU_CYCLE_1)
	s_or_b32 exec_lo, exec_lo, s7
	v_add_nc_u32_e32 v31, s6, v17
	s_cmp_gt_i32 s10, 0
	s_mov_b32 s7, 0
	s_waitcnt lgkmcnt(0)
	s_barrier
	buffer_gl0_inv
	s_cbranch_scc1 .LBB3_7
; %bb.6:
	v_add_nc_u32_e32 v23, s6, v17
	s_mov_b32 s6, 0
	s_branch .LBB3_8
.LBB3_7:
	s_mov_b32 s7, -1
                                        ; implicit-def: $sgpr6
                                        ; implicit-def: $vgpr23
.LBB3_8:
	s_load_b64 s[28:29], s[0:1], 0x20
	v_dual_mov_b32 v16, s6 :: v_dual_mov_b32 v15, s6
	v_dual_mov_b32 v14, s6 :: v_dual_mov_b32 v13, s6
	;; [unrolled: 1-line block ×8, first 2 shown]
	s_and_not1_b32 vcc_lo, exec_lo, s7
	s_cbranch_vccnz .LBB3_20
; %bb.9:
	s_clause 0x1
	s_load_b64 s[8:9], s[0:1], 0x40
	s_load_b64 s[6:7], s[0:1], 0x0
	s_ashr_i32 s0, s21, 31
	s_add_i32 s23, s4, s10
	s_lshr_b32 s0, s0, 29
	v_dual_mov_b32 v9, 0 :: v_dual_add_nc_u32 v4, v31, v29
	s_add_i32 s1, s21, s0
	v_lshlrev_b32_e32 v1, 2, v0
	s_ashr_i32 s35, s1, 3
	v_or_b32_e32 v2, v31, v29
	v_mov_b32_e32 v10, v9
	v_or_b32_e32 v32, v17, v29
	v_dual_mov_b32 v14, v9 :: v_dual_and_b32 v33, 28, v1
	s_delay_alu instid0(VALU_DEP_4)
	v_cmp_gt_i32_e64 s0, s20, v2
	v_mul_lo_u32 v2, v2, s22
	v_dual_mov_b32 v12, v9 :: v_dual_lshlrev_b32 v3, 3, v30
	v_mul_lo_u32 v4, s22, v4
	s_waitcnt lgkmcnt(0)
	s_cmp_lg_u64 s[8:9], 0
	v_or_b32_e32 v25, s3, v32
	s_cselect_b32 s36, -1, 0
	s_abs_i32 s37, s5
	v_dual_mov_b32 v11, v9 :: v_dual_lshlrev_b32 v34, 6, v3
	v_cvt_f32_u32_e32 v1, s37
	v_ashrrev_i32_e32 v3, 31, v2
	s_sub_i32 s10, 0, s37
	v_ashrrev_i32_e32 v7, 31, v25
	v_ashrrev_i32_e32 v5, 31, v4
	v_rcp_iflag_f32_e32 v6, v1
	v_mov_b32_e32 v13, v9
	s_ashr_i32 s22, s5, 31
	s_ashr_i32 s5, s4, 31
	v_lshlrev_b64 v[2:3], 1, v[2:3]
	v_lshrrev_b32_e32 v7, 29, v7
	v_lshlrev_b64 v[4:5], 1, v[4:5]
	v_mov_b32_e32 v15, v9
	v_mov_b32_e32 v16, v9
	s_delay_alu instid0(TRANS32_DEP_1) | instskip(SKIP_3) | instid1(VALU_DEP_4)
	v_dual_mov_b32 v1, v9 :: v_dual_mul_f32 v6, 0x4f7ffffe, v6
	v_add_nc_u32_e32 v7, v25, v7
	v_add_co_u32 v35, vcc_lo, s6, v2
	v_add_co_ci_u32_e32 v36, vcc_lo, s7, v3, vcc_lo
	v_cvt_u32_f32_e32 v6, v6
	v_cmp_le_i32_e64 s1, s21, v25
	v_ashrrev_i32_e32 v26, 3, v7
	v_mov_b32_e32 v2, v9
	v_mov_b32_e32 v3, v9
	v_readfirstlane_b32 s12, v6
	v_mov_b32_e32 v6, v9
	v_mov_b32_e32 v7, v9
	;; [unrolled: 1-line block ×3, first 2 shown]
	s_mov_b32 s43, 0
	s_mul_i32 s13, s10, s12
	s_lshl_b64 s[10:11], s[4:5], 2
	s_mul_hi_u32 s13, s12, s13
	s_mov_b32 s42, 0xf000f
	s_add_i32 s38, s12, s13
	s_add_u32 s8, s10, s8
	s_addc_u32 s9, s11, s9
	s_add_u32 s39, s8, 60
	s_addc_u32 s40, s9, 0
	s_lshl_b64 s[8:9], s[4:5], 1
	s_add_i32 s41, s4, 16
	s_add_u32 s4, s6, s8
	s_addc_u32 s5, s7, s9
	v_add_co_u32 v27, vcc_lo, s4, v4
	v_add_co_ci_u32_e32 v28, vcc_lo, s5, v5, vcc_lo
	v_mov_b32_e32 v4, v9
	v_mov_b32_e32 v5, v9
.LBB3_10:                               ; =>This Inner Loop Header: Depth=1
	s_cmp_ge_i32 s41, s23
	s_cselect_b32 s4, -1, 0
	s_delay_alu instid0(SALU_CYCLE_1) | instskip(NEXT) | instid1(SALU_CYCLE_1)
	s_or_b32 s4, s2, s4
	s_or_b32 s4, s4, s1
	s_delay_alu instid0(SALU_CYCLE_1) | instskip(NEXT) | instid1(SALU_CYCLE_1)
	s_xor_b32 s5, s4, -1
	s_and_saveexec_b32 s4, s5
	s_cbranch_execz .LBB3_12
; %bb.11:                               ;   in Loop: Header=BB3_10 Depth=1
	s_abs_i32 s6, s41
	s_ashr_i32 s5, s41, 31
	s_mul_hi_u32 s8, s6, s38
	s_lshr_b32 s7, s5, 29
	s_mul_i32 s9, s8, s37
	s_add_i32 s7, s41, s7
	s_sub_i32 s6, s6, s9
	s_ashr_i32 s7, s7, 3
	s_xor_b32 s5, s5, s22
	s_add_i32 s9, s8, 1
	s_sub_i32 s10, s6, s37
	s_cmp_ge_u32 s6, s37
	v_add_nc_u32_e32 v21, s7, v30
	s_cselect_b32 s8, s9, s8
	s_cselect_b32 s6, s10, s6
	s_add_i32 s9, s8, 1
	s_cmp_ge_u32 s6, s37
	v_mad_u64_u32 v[19:20], null, v21, s21, v[25:26]
	s_cselect_b32 s6, s9, s8
	s_delay_alu instid0(SALU_CYCLE_1) | instskip(NEXT) | instid1(SALU_CYCLE_1)
	s_xor_b32 s6, s6, s5
	s_sub_i32 s5, s6, s5
	s_delay_alu instid0(SALU_CYCLE_1) | instskip(NEXT) | instid1(VALU_DEP_2)
	v_mad_u64_u32 v[17:18], null, s5, s35, v[26:27]
	v_ashrrev_i32_e32 v20, 31, v19
	v_mad_u64_u32 v[21:22], null, s5, s21, v[25:26]
	s_lshl_b32 s5, s43, 10
	s_delay_alu instid0(VALU_DEP_2) | instskip(NEXT) | instid1(VALU_DEP_4)
	v_lshlrev_b64 v[19:20], 2, v[19:20]
	v_ashrrev_i32_e32 v18, 31, v17
	s_delay_alu instid0(VALU_DEP_3) | instskip(NEXT) | instid1(VALU_DEP_2)
	v_ashrrev_i32_e32 v22, 31, v21
	v_lshlrev_b64 v[17:18], 2, v[17:18]
	s_delay_alu instid0(VALU_DEP_1) | instskip(NEXT) | instid1(VALU_DEP_2)
	v_add_co_u32 v17, vcc_lo, s26, v17
	v_add_co_ci_u32_e32 v18, vcc_lo, s27, v18, vcc_lo
	global_load_b32 v23, v[17:18], off
	v_add_co_u32 v17, vcc_lo, s24, v19
	v_add_co_ci_u32_e32 v18, vcc_lo, s25, v20, vcc_lo
	global_load_b32 v19, v[17:18], off
	v_lshlrev_b64 v[17:18], 1, v[21:22]
	s_delay_alu instid0(VALU_DEP_1) | instskip(NEXT) | instid1(VALU_DEP_2)
	v_add_co_u32 v17, vcc_lo, s30, v17
	v_add_co_ci_u32_e32 v18, vcc_lo, s31, v18, vcc_lo
	global_load_u16 v17, v[17:18], off
	s_waitcnt vmcnt(2)
	v_bfe_u32 v18, v23, v33, 4
	v_subrev_nc_u32_e32 v23, s5, v34
	s_delay_alu instid0(VALU_DEP_2) | instskip(NEXT) | instid1(VALU_DEP_2)
	v_add_nc_u32_e32 v18, s34, v18
	v_lshl_add_u32 v23, v32, 1, v23
	s_waitcnt vmcnt(1)
	v_lshrrev_b32_e32 v21, 4, v19
	v_lshrrev_b32_e32 v22, 8, v19
	v_and_or_b32 v20, v19, s42, 0x64006400
	v_lshrrev_b32_e32 v19, 12, v19
	v_or_b32_e32 v18, 0x6400, v18
	v_and_or_b32 v21, v21, s42, 0x64006400
	v_and_or_b32 v22, v22, s42, 0x64006400
	s_delay_alu instid0(VALU_DEP_4) | instskip(NEXT) | instid1(VALU_DEP_4)
	v_and_or_b32 v19, v19, s42, 0x64006400
	v_pk_add_f16 v20, v20, v18 op_sel_hi:[1,0] neg_lo:[0,1] neg_hi:[0,1]
	s_delay_alu instid0(VALU_DEP_4) | instskip(NEXT) | instid1(VALU_DEP_4)
	v_pk_add_f16 v21, v21, v18 op_sel_hi:[1,0] neg_lo:[0,1] neg_hi:[0,1]
	v_pk_add_f16 v22, v22, v18 op_sel_hi:[1,0] neg_lo:[0,1] neg_hi:[0,1]
	s_delay_alu instid0(VALU_DEP_4)
	v_pk_add_f16 v18, v19, v18 op_sel_hi:[1,0] neg_lo:[0,1] neg_hi:[0,1]
	s_waitcnt vmcnt(0)
	v_pk_mul_f16 v19, v17, v20 op_sel_hi:[0,1]
	v_pk_mul_f16 v20, v17, v21 op_sel_hi:[0,1]
	;; [unrolled: 1-line block ×4, first 2 shown]
	ds_store_b16 v23, v19 offset:1024
	ds_store_b16_d16_hi v23, v19 offset:1088
	ds_store_b16 v23, v20 offset:1152
	ds_store_b16_d16_hi v23, v20 offset:1216
	;; [unrolled: 2-line block ×4, first 2 shown]
.LBB3_12:                               ;   in Loop: Header=BB3_10 Depth=1
	s_or_b32 exec_lo, exec_lo, s4
	v_dual_mov_b32 v17, 0 :: v_dual_mov_b32 v18, 0
	v_dual_mov_b32 v19, 0 :: v_dual_mov_b32 v20, 0
	;; [unrolled: 1-line block ×4, first 2 shown]
	s_and_saveexec_b32 s44, s0
	s_cbranch_execz .LBB3_16
; %bb.13:                               ;   in Loop: Header=BB3_10 Depth=1
	s_and_not1_b32 vcc_lo, exec_lo, s36
	s_cbranch_vccnz .LBB3_18
; %bb.14:                               ;   in Loop: Header=BB3_10 Depth=1
	s_add_u32 s4, s39, 0xffffffc4
	s_addc_u32 s5, s40, -1
	s_load_b512 s[4:19], s[4:5], 0x0
	s_waitcnt lgkmcnt(0)
	s_ashr_i32 s47, s4, 31
	s_mov_b32 s46, s4
	s_ashr_i32 s49, s6, 31
	s_lshl_b64 s[46:47], s[46:47], 1
	s_mov_b32 s48, s6
	v_add_co_u32 v17, vcc_lo, v35, s46
	s_lshl_b64 s[48:49], s[48:49], 1
	s_ashr_i32 s51, s8, 31
	s_mov_b32 s50, s8
	v_add_co_ci_u32_e32 v18, vcc_lo, s47, v36, vcc_lo
	v_add_co_u32 v19, vcc_lo, v35, s48
	s_lshl_b64 s[50:51], s[50:51], 1
	s_ashr_i32 s53, s10, 31
	s_mov_b32 s52, s10
	v_add_co_ci_u32_e32 v20, vcc_lo, s49, v36, vcc_lo
	v_add_co_u32 v21, vcc_lo, v35, s50
	s_lshl_b64 s[52:53], s[52:53], 1
	s_ashr_i32 s55, s12, 31
	v_add_co_ci_u32_e32 v22, vcc_lo, s51, v36, vcc_lo
	s_mov_b32 s54, s12
	v_add_co_u32 v23, vcc_lo, v35, s52
	s_lshl_b64 s[46:47], s[54:55], 1
	v_add_co_ci_u32_e32 v24, vcc_lo, s53, v36, vcc_lo
	s_ashr_i32 s49, s14, 31
	s_mov_b32 s48, s14
	v_add_co_u32 v37, vcc_lo, v35, s46
	v_add_co_ci_u32_e32 v38, vcc_lo, s47, v36, vcc_lo
	s_lshl_b64 s[46:47], s[48:49], 1
	s_ashr_i32 s49, s16, 31
	s_mov_b32 s48, s16
	v_add_co_u32 v39, vcc_lo, v35, s46
	v_add_co_ci_u32_e32 v40, vcc_lo, s47, v36, vcc_lo
	s_lshl_b64 s[46:47], s[48:49], 1
	s_ashr_i32 s49, s18, 31
	s_mov_b32 s48, s18
	v_add_co_u32 v41, vcc_lo, v35, s46
	v_add_co_ci_u32_e32 v42, vcc_lo, s47, v36, vcc_lo
	s_lshl_b64 s[46:47], s[48:49], 1
	s_mov_b32 s4, s7
	v_add_co_u32 v43, vcc_lo, v35, s46
	v_add_co_ci_u32_e32 v44, vcc_lo, s47, v36, vcc_lo
	s_clause 0x7
	global_load_u16 v17, v[17:18], off
	global_load_u16 v18, v[19:20], off
	;; [unrolled: 1-line block ×8, first 2 shown]
	s_ashr_i32 s47, s5, 31
	s_mov_b32 s46, s5
	s_ashr_i32 s5, s7, 31
	s_ashr_i32 s7, s9, 31
	s_mov_b32 s6, s9
	s_ashr_i32 s9, s11, 31
	s_mov_b32 s8, s11
	s_ashr_i32 s11, s13, 31
	s_mov_b32 s10, s13
	s_ashr_i32 s13, s15, 31
	s_mov_b32 s12, s15
	s_ashr_i32 s15, s17, 31
	s_mov_b32 s14, s17
	s_ashr_i32 s17, s19, 31
	s_mov_b32 s16, s19
	s_lshl_b64 s[18:19], s[46:47], 1
	s_lshl_b64 s[4:5], s[4:5], 1
	v_add_co_u32 v37, vcc_lo, v35, s18
	v_add_co_ci_u32_e32 v38, vcc_lo, s19, v36, vcc_lo
	v_add_co_u32 v39, vcc_lo, v35, s4
	s_lshl_b64 s[6:7], s[6:7], 1
	v_add_co_ci_u32_e32 v40, vcc_lo, s5, v36, vcc_lo
	v_add_co_u32 v41, vcc_lo, v35, s6
	s_lshl_b64 s[8:9], s[8:9], 1
	;; [unrolled: 3-line block ×6, first 2 shown]
	v_add_co_ci_u32_e32 v50, vcc_lo, s15, v36, vcc_lo
	v_add_co_u32 v51, vcc_lo, v35, s16
	v_add_co_ci_u32_e32 v52, vcc_lo, s17, v36, vcc_lo
	s_clause 0x7
	global_load_d16_hi_b16 v17, v[37:38], off
	global_load_d16_hi_b16 v18, v[39:40], off
	;; [unrolled: 1-line block ×8, first 2 shown]
	s_cbranch_execnz .LBB3_16
.LBB3_15:                               ;   in Loop: Header=BB3_10 Depth=1
	s_clause 0x1
	global_load_b128 v[17:20], v[27:28], off
	global_load_b128 v[21:24], v[27:28], off offset:16
.LBB3_16:                               ;   in Loop: Header=BB3_10 Depth=1
	s_or_b32 exec_lo, exec_lo, s44
	v_lshlrev_b32_e32 v37, 1, v29
	v_add_co_u32 v27, vcc_lo, v27, 32
	v_add_co_ci_u32_e32 v28, vcc_lo, 0, v28, vcc_lo
	s_delay_alu instid0(VALU_DEP_3)
	v_lshl_or_b32 v53, s43, 10, v37
	s_sub_i32 s43, 1, s43
	s_add_u32 s39, s39, 64
	s_addc_u32 s40, s40, 0
	s_add_i32 s4, s41, 16
	ds_load_u16 v37, v53
	ds_load_u16 v45, v53 offset:32
	ds_load_u16 v38, v53 offset:128
	;; [unrolled: 1-line block ×15, first 2 shown]
	s_cmp_ge_i32 s41, s23
	s_waitcnt lgkmcnt(15)
	ds_load_u16_d16_hi v37, v53 offset:64
	s_waitcnt lgkmcnt(15)
	ds_load_u16_d16_hi v45, v53 offset:96
	;; [unrolled: 2-line block ×16, first 2 shown]
	s_waitcnt vmcnt(0) lgkmcnt(0)
	s_barrier
	buffer_gl0_inv
	v_wmma_f32_16x16x16_f16 v[9:16], v[17:24], v[37:44], v[9:16]
	v_wmma_f32_16x16x16_f16 v[1:8], v[17:24], v[45:52], v[1:8]
	s_cbranch_scc1 .LBB3_19
; %bb.17:                               ;   in Loop: Header=BB3_10 Depth=1
	s_mov_b32 s41, s4
	s_branch .LBB3_10
.LBB3_18:                               ;   in Loop: Header=BB3_10 Depth=1
                                        ; implicit-def: $vgpr24
	s_branch .LBB3_15
.LBB3_19:
	v_mov_b32_e32 v23, v31
.LBB3_20:
	s_cmp_lt_u32 s33, 2
	v_or_b32_e32 v17, s3, v29
	s_cselect_b32 s2, -1, 0
	s_mov_b32 s0, -1
	s_and_b32 vcc_lo, exec_lo, s2
	s_cbranch_vccz .LBB3_39
; %bb.21:
	s_mov_b32 s0, exec_lo
	v_cmpx_gt_i32_e64 s21, v17
	s_cbranch_execz .LBB3_38
; %bb.22:
	v_ashrrev_i32_e32 v18, 31, v17
	v_or_b32_e32 v20, v23, v30
	s_mov_b32 s1, exec_lo
	s_delay_alu instid0(VALU_DEP_2) | instskip(NEXT) | instid1(VALU_DEP_2)
	v_lshlrev_b64 v[18:19], 1, v[17:18]
	v_cmpx_gt_i32_e64 s20, v20
	s_cbranch_execz .LBB3_24
; %bb.23:
	v_mul_lo_u32 v21, v20, s21
	v_cvt_f16_f32_e32 v24, v9
	s_delay_alu instid0(VALU_DEP_2) | instskip(NEXT) | instid1(VALU_DEP_1)
	v_ashrrev_i32_e32 v22, 31, v21
	v_lshlrev_b64 v[21:22], 1, v[21:22]
	s_waitcnt lgkmcnt(0)
	s_delay_alu instid0(VALU_DEP_1) | instskip(NEXT) | instid1(VALU_DEP_2)
	v_add_co_u32 v21, vcc_lo, s28, v21
	v_add_co_ci_u32_e32 v22, vcc_lo, s29, v22, vcc_lo
	s_delay_alu instid0(VALU_DEP_2) | instskip(NEXT) | instid1(VALU_DEP_2)
	v_add_co_u32 v21, vcc_lo, v21, v18
	v_add_co_ci_u32_e32 v22, vcc_lo, v22, v19, vcc_lo
	global_store_b16 v[21:22], v24, off
.LBB3_24:
	s_or_b32 exec_lo, exec_lo, s1
	v_or_b32_e32 v21, 2, v20
	s_mov_b32 s1, exec_lo
	s_delay_alu instid0(VALU_DEP_1)
	v_cmpx_gt_i32_e64 s20, v21
	s_cbranch_execz .LBB3_26
; %bb.25:
	v_mul_lo_u32 v21, v21, s21
	v_cvt_f16_f32_e32 v24, v10
	s_delay_alu instid0(VALU_DEP_2) | instskip(NEXT) | instid1(VALU_DEP_1)
	v_ashrrev_i32_e32 v22, 31, v21
	v_lshlrev_b64 v[21:22], 1, v[21:22]
	s_waitcnt lgkmcnt(0)
	s_delay_alu instid0(VALU_DEP_1) | instskip(NEXT) | instid1(VALU_DEP_2)
	v_add_co_u32 v21, vcc_lo, s28, v21
	v_add_co_ci_u32_e32 v22, vcc_lo, s29, v22, vcc_lo
	s_delay_alu instid0(VALU_DEP_2) | instskip(NEXT) | instid1(VALU_DEP_2)
	v_add_co_u32 v21, vcc_lo, v21, v18
	v_add_co_ci_u32_e32 v22, vcc_lo, v22, v19, vcc_lo
	global_store_b16 v[21:22], v24, off
.LBB3_26:
	s_or_b32 exec_lo, exec_lo, s1
	v_or_b32_e32 v21, 4, v20
	s_mov_b32 s1, exec_lo
	s_delay_alu instid0(VALU_DEP_1)
	;; [unrolled: 21-line block ×6, first 2 shown]
	v_cmpx_gt_i32_e64 s20, v21
	s_cbranch_execz .LBB3_36
; %bb.35:
	v_mul_lo_u32 v21, v21, s21
	v_cvt_f16_f32_e32 v24, v15
	s_delay_alu instid0(VALU_DEP_2) | instskip(NEXT) | instid1(VALU_DEP_1)
	v_ashrrev_i32_e32 v22, 31, v21
	v_lshlrev_b64 v[21:22], 1, v[21:22]
	s_waitcnt lgkmcnt(0)
	s_delay_alu instid0(VALU_DEP_1) | instskip(NEXT) | instid1(VALU_DEP_2)
	v_add_co_u32 v21, vcc_lo, s28, v21
	v_add_co_ci_u32_e32 v22, vcc_lo, s29, v22, vcc_lo
	s_delay_alu instid0(VALU_DEP_2) | instskip(NEXT) | instid1(VALU_DEP_2)
	v_add_co_u32 v21, vcc_lo, v21, v18
	v_add_co_ci_u32_e32 v22, vcc_lo, v22, v19, vcc_lo
	global_store_b16 v[21:22], v24, off
.LBB3_36:
	s_or_b32 exec_lo, exec_lo, s1
	v_or_b32_e32 v20, 14, v20
	s_delay_alu instid0(VALU_DEP_1)
	v_cmp_gt_i32_e32 vcc_lo, s20, v20
	s_and_b32 exec_lo, exec_lo, vcc_lo
	s_cbranch_execz .LBB3_38
; %bb.37:
	v_mul_lo_u32 v20, v20, s21
	s_delay_alu instid0(VALU_DEP_1) | instskip(NEXT) | instid1(VALU_DEP_1)
	v_ashrrev_i32_e32 v21, 31, v20
	v_lshlrev_b64 v[20:21], 1, v[20:21]
	s_waitcnt lgkmcnt(0)
	s_delay_alu instid0(VALU_DEP_1) | instskip(NEXT) | instid1(VALU_DEP_2)
	v_add_co_u32 v20, vcc_lo, s28, v20
	v_add_co_ci_u32_e32 v21, vcc_lo, s29, v21, vcc_lo
	s_delay_alu instid0(VALU_DEP_2) | instskip(NEXT) | instid1(VALU_DEP_2)
	v_add_co_u32 v18, vcc_lo, v20, v18
	v_add_co_ci_u32_e32 v19, vcc_lo, v21, v19, vcc_lo
	v_cvt_f16_f32_e32 v20, v16
	global_store_b16 v[18:19], v20, off
.LBB3_38:
	s_or_b32 exec_lo, exec_lo, s0
	s_mov_b32 s0, 0
.LBB3_39:
	v_and_b32_e32 v0, 1, v0
	v_mbcnt_lo_u32_b32 v24, -1, 0
	s_and_not1_b32 vcc_lo, exec_lo, s0
	s_cbranch_vccnz .LBB3_73
; %bb.40:
	s_delay_alu instid0(VALU_DEP_1) | instskip(NEXT) | instid1(VALU_DEP_1)
	v_xor_b32_e32 v18, 1, v24
	v_cmp_gt_i32_e32 vcc_lo, 32, v18
	v_cndmask_b32_e32 v18, v24, v18, vcc_lo
	v_cmp_eq_u32_e32 vcc_lo, 0, v0
	s_delay_alu instid0(VALU_DEP_2)
	v_lshlrev_b32_e32 v25, 2, v18
	v_ashrrev_i32_e32 v18, 31, v17
	ds_bpermute_b32 v21, v25, v9
	s_and_saveexec_b32 s4, vcc_lo
	s_cbranch_execz .LBB3_44
; %bb.41:
	v_or_b32_e32 v19, v23, v30
	v_cmp_gt_i32_e64 s1, s21, v17
	s_delay_alu instid0(VALU_DEP_2) | instskip(NEXT) | instid1(VALU_DEP_1)
	v_cmp_gt_i32_e64 s0, s20, v19
	s_and_b32 s0, s0, s1
	s_delay_alu instid0(SALU_CYCLE_1)
	s_and_b32 exec_lo, exec_lo, s0
	s_cbranch_execz .LBB3_44
; %bb.42:
	v_mul_lo_u32 v19, v19, s21
	v_lshlrev_b64 v[26:27], 1, v[17:18]
	v_cvt_f16_f32_e32 v9, v9
	s_waitcnt lgkmcnt(0)
	v_cvt_f16_f32_e32 v21, v21
	s_mov_b32 s1, 0
	s_delay_alu instid0(VALU_DEP_1) | instskip(SKIP_1) | instid1(VALU_DEP_1)
	v_pack_b32_f16 v9, v9, v21
	v_ashrrev_i32_e32 v20, 31, v19
	v_lshlrev_b64 v[19:20], 1, v[19:20]
	s_delay_alu instid0(VALU_DEP_1) | instskip(NEXT) | instid1(VALU_DEP_1)
	v_add_co_u32 v19, s0, s28, v19
	v_add_co_ci_u32_e64 v20, s0, s29, v20, s0
	s_delay_alu instid0(VALU_DEP_2) | instskip(NEXT) | instid1(VALU_DEP_1)
	v_add_co_u32 v19, s0, v19, v26
	v_add_co_ci_u32_e64 v20, s0, v20, v27, s0
	global_load_b32 v22, v[19:20], off
.LBB3_43:                               ; =>This Inner Loop Header: Depth=1
	s_waitcnt vmcnt(0)
	v_pk_add_f16 v21, v9, v22
	global_atomic_cmpswap_b32 v21, v[19:20], v[21:22], off glc
	s_waitcnt vmcnt(0)
	v_cmp_eq_u32_e64 s0, v21, v22
	v_mov_b32_e32 v22, v21
	s_delay_alu instid0(VALU_DEP_2) | instskip(NEXT) | instid1(SALU_CYCLE_1)
	s_or_b32 s1, s0, s1
	s_and_not1_b32 exec_lo, exec_lo, s1
	s_cbranch_execnz .LBB3_43
.LBB3_44:
	s_or_b32 exec_lo, exec_lo, s4
	ds_bpermute_b32 v9, v25, v10
	s_and_saveexec_b32 s4, vcc_lo
	s_cbranch_execz .LBB3_48
; %bb.45:
	v_or3_b32 v19, v30, v23, 2
	v_cmp_gt_i32_e64 s1, s21, v17
	s_delay_alu instid0(VALU_DEP_2) | instskip(NEXT) | instid1(VALU_DEP_1)
	v_cmp_gt_i32_e64 s0, s20, v19
	s_and_b32 s0, s0, s1
	s_delay_alu instid0(SALU_CYCLE_1)
	s_and_b32 exec_lo, exec_lo, s0
	s_cbranch_execz .LBB3_48
; %bb.46:
	v_mul_lo_u32 v19, v19, s21
	s_waitcnt lgkmcnt(0)
	v_lshlrev_b64 v[21:22], 1, v[17:18]
	v_cvt_f16_f32_e32 v10, v10
	v_cvt_f16_f32_e32 v9, v9
	s_mov_b32 s1, 0
	s_delay_alu instid0(VALU_DEP_1) | instskip(SKIP_1) | instid1(VALU_DEP_1)
	v_pack_b32_f16 v9, v10, v9
	v_ashrrev_i32_e32 v20, 31, v19
	v_lshlrev_b64 v[19:20], 1, v[19:20]
	s_delay_alu instid0(VALU_DEP_1) | instskip(NEXT) | instid1(VALU_DEP_1)
	v_add_co_u32 v19, s0, s28, v19
	v_add_co_ci_u32_e64 v20, s0, s29, v20, s0
	s_delay_alu instid0(VALU_DEP_2) | instskip(NEXT) | instid1(VALU_DEP_1)
	v_add_co_u32 v19, s0, v19, v21
	v_add_co_ci_u32_e64 v20, s0, v20, v22, s0
	global_load_b32 v22, v[19:20], off
.LBB3_47:                               ; =>This Inner Loop Header: Depth=1
	s_waitcnt vmcnt(0)
	v_pk_add_f16 v21, v9, v22
	global_atomic_cmpswap_b32 v10, v[19:20], v[21:22], off glc
	s_waitcnt vmcnt(0)
	v_cmp_eq_u32_e64 s0, v10, v22
	v_mov_b32_e32 v22, v10
	s_delay_alu instid0(VALU_DEP_2) | instskip(NEXT) | instid1(SALU_CYCLE_1)
	s_or_b32 s1, s0, s1
	s_and_not1_b32 exec_lo, exec_lo, s1
	s_cbranch_execnz .LBB3_47
.LBB3_48:
	s_or_b32 exec_lo, exec_lo, s4
	ds_bpermute_b32 v19, v25, v11
	s_and_saveexec_b32 s4, vcc_lo
	s_cbranch_execz .LBB3_52
; %bb.49:
	s_waitcnt lgkmcnt(0)
	v_or3_b32 v9, v30, v23, 4
	v_cmp_gt_i32_e64 s1, s21, v17
	s_delay_alu instid0(VALU_DEP_2) | instskip(NEXT) | instid1(VALU_DEP_1)
	v_cmp_gt_i32_e64 s0, s20, v9
	s_and_b32 s0, s0, s1
	s_delay_alu instid0(SALU_CYCLE_1)
	s_and_b32 exec_lo, exec_lo, s0
	s_cbranch_execz .LBB3_52
; %bb.50:
	v_mul_lo_u32 v9, v9, s21
	v_lshlrev_b64 v[20:21], 1, v[17:18]
	v_cvt_f16_f32_e32 v11, v11
	v_cvt_f16_f32_e32 v19, v19
	s_mov_b32 s1, 0
	s_delay_alu instid0(VALU_DEP_1) | instskip(SKIP_1) | instid1(VALU_DEP_1)
	v_pack_b32_f16 v11, v11, v19
	v_ashrrev_i32_e32 v10, 31, v9
	v_lshlrev_b64 v[9:10], 1, v[9:10]
	s_delay_alu instid0(VALU_DEP_1) | instskip(NEXT) | instid1(VALU_DEP_1)
	v_add_co_u32 v9, s0, s28, v9
	v_add_co_ci_u32_e64 v10, s0, s29, v10, s0
	s_delay_alu instid0(VALU_DEP_2) | instskip(NEXT) | instid1(VALU_DEP_1)
	v_add_co_u32 v9, s0, v9, v20
	v_add_co_ci_u32_e64 v10, s0, v10, v21, s0
	global_load_b32 v20, v[9:10], off
.LBB3_51:                               ; =>This Inner Loop Header: Depth=1
	s_waitcnt vmcnt(0)
	v_pk_add_f16 v19, v11, v20
	global_atomic_cmpswap_b32 v19, v[9:10], v[19:20], off glc
	s_waitcnt vmcnt(0)
	v_cmp_eq_u32_e64 s0, v19, v20
	v_mov_b32_e32 v20, v19
	s_delay_alu instid0(VALU_DEP_2) | instskip(NEXT) | instid1(SALU_CYCLE_1)
	s_or_b32 s1, s0, s1
	s_and_not1_b32 exec_lo, exec_lo, s1
	s_cbranch_execnz .LBB3_51
.LBB3_52:
	s_or_b32 exec_lo, exec_lo, s4
	ds_bpermute_b32 v11, v25, v12
	s_and_saveexec_b32 s4, vcc_lo
	s_cbranch_execz .LBB3_56
; %bb.53:
	s_waitcnt lgkmcnt(0)
	v_or3_b32 v9, v30, v23, 6
	v_cmp_gt_i32_e64 s1, s21, v17
	s_delay_alu instid0(VALU_DEP_2) | instskip(NEXT) | instid1(VALU_DEP_1)
	v_cmp_gt_i32_e64 s0, s20, v9
	s_and_b32 s0, s0, s1
	s_delay_alu instid0(SALU_CYCLE_1)
	s_and_b32 exec_lo, exec_lo, s0
	s_cbranch_execz .LBB3_56
; %bb.54:
	v_mul_lo_u32 v9, v9, s21
	v_lshlrev_b64 v[19:20], 1, v[17:18]
	v_cvt_f16_f32_e32 v12, v12
	v_cvt_f16_f32_e32 v11, v11
	s_mov_b32 s1, 0
	s_delay_alu instid0(VALU_DEP_1) | instskip(SKIP_1) | instid1(VALU_DEP_1)
	v_pack_b32_f16 v11, v12, v11
	v_ashrrev_i32_e32 v10, 31, v9
	v_lshlrev_b64 v[9:10], 1, v[9:10]
	s_delay_alu instid0(VALU_DEP_1) | instskip(NEXT) | instid1(VALU_DEP_1)
	v_add_co_u32 v9, s0, s28, v9
	v_add_co_ci_u32_e64 v10, s0, s29, v10, s0
	s_delay_alu instid0(VALU_DEP_2) | instskip(NEXT) | instid1(VALU_DEP_1)
	v_add_co_u32 v9, s0, v9, v19
	v_add_co_ci_u32_e64 v10, s0, v10, v20, s0
	global_load_b32 v20, v[9:10], off
.LBB3_55:                               ; =>This Inner Loop Header: Depth=1
	s_waitcnt vmcnt(0)
	v_pk_add_f16 v19, v11, v20
	global_atomic_cmpswap_b32 v12, v[9:10], v[19:20], off glc
	s_waitcnt vmcnt(0)
	v_cmp_eq_u32_e64 s0, v12, v20
	v_mov_b32_e32 v20, v12
	s_delay_alu instid0(VALU_DEP_2) | instskip(NEXT) | instid1(SALU_CYCLE_1)
	s_or_b32 s1, s0, s1
	s_and_not1_b32 exec_lo, exec_lo, s1
	s_cbranch_execnz .LBB3_55
.LBB3_56:
	s_or_b32 exec_lo, exec_lo, s4
	s_waitcnt lgkmcnt(0)
	ds_bpermute_b32 v11, v25, v13
	s_and_saveexec_b32 s4, vcc_lo
	s_cbranch_execz .LBB3_60
; %bb.57:
	v_or3_b32 v9, v30, v23, 8
	v_cmp_gt_i32_e64 s1, s21, v17
	s_delay_alu instid0(VALU_DEP_2) | instskip(NEXT) | instid1(VALU_DEP_1)
	v_cmp_gt_i32_e64 s0, s20, v9
	s_and_b32 s0, s0, s1
	s_delay_alu instid0(SALU_CYCLE_1)
	s_and_b32 exec_lo, exec_lo, s0
	s_cbranch_execz .LBB3_60
; %bb.58:
	v_mul_lo_u32 v9, v9, s21
	v_lshlrev_b64 v[19:20], 1, v[17:18]
	v_cvt_f16_f32_e32 v13, v13
	s_waitcnt lgkmcnt(0)
	v_cvt_f16_f32_e32 v11, v11
	s_mov_b32 s1, 0
	s_delay_alu instid0(VALU_DEP_1) | instskip(SKIP_1) | instid1(VALU_DEP_1)
	v_pack_b32_f16 v13, v13, v11
	v_ashrrev_i32_e32 v10, 31, v9
	v_lshlrev_b64 v[9:10], 1, v[9:10]
	s_delay_alu instid0(VALU_DEP_1) | instskip(NEXT) | instid1(VALU_DEP_1)
	v_add_co_u32 v9, s0, s28, v9
	v_add_co_ci_u32_e64 v10, s0, s29, v10, s0
	s_delay_alu instid0(VALU_DEP_2) | instskip(NEXT) | instid1(VALU_DEP_1)
	v_add_co_u32 v9, s0, v9, v19
	v_add_co_ci_u32_e64 v10, s0, v10, v20, s0
	global_load_b32 v12, v[9:10], off
.LBB3_59:                               ; =>This Inner Loop Header: Depth=1
	s_waitcnt vmcnt(0)
	v_pk_add_f16 v11, v13, v12
	global_atomic_cmpswap_b32 v11, v[9:10], v[11:12], off glc
	s_waitcnt vmcnt(0)
	v_cmp_eq_u32_e64 s0, v11, v12
	v_mov_b32_e32 v12, v11
	s_delay_alu instid0(VALU_DEP_2) | instskip(NEXT) | instid1(SALU_CYCLE_1)
	s_or_b32 s1, s0, s1
	s_and_not1_b32 exec_lo, exec_lo, s1
	s_cbranch_execnz .LBB3_59
.LBB3_60:
	s_or_b32 exec_lo, exec_lo, s4
	s_waitcnt lgkmcnt(0)
	ds_bpermute_b32 v11, v25, v14
	s_and_saveexec_b32 s4, vcc_lo
	s_cbranch_execz .LBB3_64
; %bb.61:
	v_or3_b32 v9, v30, v23, 10
	v_cmp_gt_i32_e64 s1, s21, v17
	s_delay_alu instid0(VALU_DEP_2) | instskip(NEXT) | instid1(VALU_DEP_1)
	v_cmp_gt_i32_e64 s0, s20, v9
	s_and_b32 s0, s0, s1
	s_delay_alu instid0(SALU_CYCLE_1)
	s_and_b32 exec_lo, exec_lo, s0
	s_cbranch_execz .LBB3_64
; %bb.62:
	v_mul_lo_u32 v9, v9, s21
	v_lshlrev_b64 v[12:13], 1, v[17:18]
	s_waitcnt lgkmcnt(0)
	v_cvt_f16_f32_e32 v11, v11
	s_mov_b32 s1, 0
	s_delay_alu instid0(VALU_DEP_3) | instskip(NEXT) | instid1(VALU_DEP_1)
	v_ashrrev_i32_e32 v10, 31, v9
	v_lshlrev_b64 v[9:10], 1, v[9:10]
	s_delay_alu instid0(VALU_DEP_1) | instskip(NEXT) | instid1(VALU_DEP_1)
	v_add_co_u32 v9, s0, s28, v9
	v_add_co_ci_u32_e64 v10, s0, s29, v10, s0
	s_delay_alu instid0(VALU_DEP_2) | instskip(NEXT) | instid1(VALU_DEP_1)
	v_add_co_u32 v9, s0, v9, v12
	v_add_co_ci_u32_e64 v10, s0, v10, v13, s0
	v_cvt_f16_f32_e32 v13, v14
	global_load_b32 v12, v[9:10], off
	v_pack_b32_f16 v13, v13, v11
.LBB3_63:                               ; =>This Inner Loop Header: Depth=1
	s_waitcnt vmcnt(0)
	s_delay_alu instid0(VALU_DEP_1) | instskip(SKIP_4) | instid1(VALU_DEP_2)
	v_pk_add_f16 v11, v13, v12
	global_atomic_cmpswap_b32 v11, v[9:10], v[11:12], off glc
	s_waitcnt vmcnt(0)
	v_cmp_eq_u32_e64 s0, v11, v12
	v_mov_b32_e32 v12, v11
	s_or_b32 s1, s0, s1
	s_delay_alu instid0(SALU_CYCLE_1)
	s_and_not1_b32 exec_lo, exec_lo, s1
	s_cbranch_execnz .LBB3_63
.LBB3_64:
	s_or_b32 exec_lo, exec_lo, s4
	s_waitcnt lgkmcnt(0)
	ds_bpermute_b32 v11, v25, v15
	s_and_saveexec_b32 s4, vcc_lo
	s_cbranch_execz .LBB3_68
; %bb.65:
	v_or3_b32 v9, v30, v23, 12
	v_cmp_gt_i32_e64 s1, s21, v17
	s_delay_alu instid0(VALU_DEP_2) | instskip(NEXT) | instid1(VALU_DEP_1)
	v_cmp_gt_i32_e64 s0, s20, v9
	s_and_b32 s0, s0, s1
	s_delay_alu instid0(SALU_CYCLE_1)
	s_and_b32 exec_lo, exec_lo, s0
	s_cbranch_execz .LBB3_68
; %bb.66:
	v_mul_lo_u32 v9, v9, s21
	v_lshlrev_b64 v[12:13], 1, v[17:18]
	s_waitcnt lgkmcnt(0)
	v_cvt_f16_f32_e32 v11, v11
	s_mov_b32 s1, 0
	s_delay_alu instid0(VALU_DEP_3) | instskip(NEXT) | instid1(VALU_DEP_1)
	v_ashrrev_i32_e32 v10, 31, v9
	v_lshlrev_b64 v[9:10], 1, v[9:10]
	s_delay_alu instid0(VALU_DEP_1) | instskip(NEXT) | instid1(VALU_DEP_1)
	v_add_co_u32 v9, s0, s28, v9
	v_add_co_ci_u32_e64 v10, s0, s29, v10, s0
	s_delay_alu instid0(VALU_DEP_2) | instskip(NEXT) | instid1(VALU_DEP_1)
	v_add_co_u32 v9, s0, v9, v12
	v_add_co_ci_u32_e64 v10, s0, v10, v13, s0
	v_cvt_f16_f32_e32 v13, v15
	global_load_b32 v12, v[9:10], off
	v_pack_b32_f16 v13, v13, v11
.LBB3_67:                               ; =>This Inner Loop Header: Depth=1
	s_waitcnt vmcnt(0)
	s_delay_alu instid0(VALU_DEP_1) | instskip(SKIP_4) | instid1(VALU_DEP_2)
	v_pk_add_f16 v11, v13, v12
	global_atomic_cmpswap_b32 v11, v[9:10], v[11:12], off glc
	s_waitcnt vmcnt(0)
	v_cmp_eq_u32_e64 s0, v11, v12
	v_mov_b32_e32 v12, v11
	s_or_b32 s1, s0, s1
	s_delay_alu instid0(SALU_CYCLE_1)
	s_and_not1_b32 exec_lo, exec_lo, s1
	s_cbranch_execnz .LBB3_67
.LBB3_68:
	s_or_b32 exec_lo, exec_lo, s4
	s_waitcnt lgkmcnt(0)
	ds_bpermute_b32 v11, v25, v16
	s_and_saveexec_b32 s1, vcc_lo
	s_cbranch_execz .LBB3_72
; %bb.69:
	v_or3_b32 v9, v30, v23, 14
	v_cmp_gt_i32_e64 s0, s21, v17
	s_delay_alu instid0(VALU_DEP_2) | instskip(NEXT) | instid1(VALU_DEP_2)
	v_cmp_gt_i32_e32 vcc_lo, s20, v9
	s_and_b32 s0, vcc_lo, s0
	s_delay_alu instid0(SALU_CYCLE_1)
	s_and_b32 exec_lo, exec_lo, s0
	s_cbranch_execz .LBB3_72
; %bb.70:
	v_mul_lo_u32 v9, v9, s21
	v_lshlrev_b64 v[12:13], 1, v[17:18]
	s_waitcnt lgkmcnt(0)
	v_cvt_f16_f32_e32 v11, v11
	s_mov_b32 s0, 0
	s_delay_alu instid0(VALU_DEP_3) | instskip(NEXT) | instid1(VALU_DEP_1)
	v_ashrrev_i32_e32 v10, 31, v9
	v_lshlrev_b64 v[9:10], 1, v[9:10]
	s_delay_alu instid0(VALU_DEP_1) | instskip(NEXT) | instid1(VALU_DEP_2)
	v_add_co_u32 v9, vcc_lo, s28, v9
	v_add_co_ci_u32_e32 v10, vcc_lo, s29, v10, vcc_lo
	s_delay_alu instid0(VALU_DEP_2) | instskip(NEXT) | instid1(VALU_DEP_2)
	v_add_co_u32 v9, vcc_lo, v9, v12
	v_add_co_ci_u32_e32 v10, vcc_lo, v10, v13, vcc_lo
	v_cvt_f16_f32_e32 v13, v16
	global_load_b32 v12, v[9:10], off
	v_pack_b32_f16 v13, v13, v11
.LBB3_71:                               ; =>This Inner Loop Header: Depth=1
	s_waitcnt vmcnt(0)
	s_delay_alu instid0(VALU_DEP_1)
	v_pk_add_f16 v11, v13, v12
	global_atomic_cmpswap_b32 v11, v[9:10], v[11:12], off glc
	s_waitcnt vmcnt(0)
	v_cmp_eq_u32_e32 vcc_lo, v11, v12
	v_mov_b32_e32 v12, v11
	s_or_b32 s0, vcc_lo, s0
	s_delay_alu instid0(SALU_CYCLE_1)
	s_and_not1_b32 exec_lo, exec_lo, s0
	s_cbranch_execnz .LBB3_71
.LBB3_72:
	s_or_b32 exec_lo, exec_lo, s1
.LBB3_73:
	s_or_b32 s0, s3, 16
	s_and_b32 vcc_lo, exec_lo, s2
	v_or_b32_e32 v13, s0, v29
	s_mov_b32 s1, -1
	s_delay_alu instid0(VALU_DEP_1)
	v_cmp_gt_i32_e64 s0, s21, v13
	s_cbranch_vccz .LBB3_92
; %bb.74:
	s_delay_alu instid0(VALU_DEP_1)
	s_and_saveexec_b32 s1, s0
	s_cbranch_execz .LBB3_91
; %bb.75:
	v_or_b32_e32 v9, v23, v30
	s_mov_b32 s0, exec_lo
	s_delay_alu instid0(VALU_DEP_1)
	v_cmpx_gt_i32_e64 s20, v9
	s_cbranch_execz .LBB3_77
; %bb.76:
	v_mul_lo_u32 v10, v9, s21
	s_ashr_i32 s2, s3, 31
	v_add_co_u32 v14, s4, s3, v29
	s_delay_alu instid0(VALU_DEP_1) | instskip(SKIP_2) | instid1(VALU_DEP_4)
	v_add_co_ci_u32_e64 v15, null, s2, 0, s4
	v_cvt_f16_f32_e32 v12, v1
	s_waitcnt lgkmcnt(0)
	v_ashrrev_i32_e32 v11, 31, v10
	s_delay_alu instid0(VALU_DEP_3) | instskip(NEXT) | instid1(VALU_DEP_2)
	v_lshlrev_b64 v[14:15], 1, v[14:15]
	v_lshlrev_b64 v[10:11], 1, v[10:11]
	s_delay_alu instid0(VALU_DEP_1) | instskip(NEXT) | instid1(VALU_DEP_2)
	v_add_co_u32 v10, vcc_lo, s28, v10
	v_add_co_ci_u32_e32 v11, vcc_lo, s29, v11, vcc_lo
	s_delay_alu instid0(VALU_DEP_2) | instskip(NEXT) | instid1(VALU_DEP_2)
	v_add_co_u32 v10, vcc_lo, v10, v14
	v_add_co_ci_u32_e32 v11, vcc_lo, v11, v15, vcc_lo
	global_store_b16 v[10:11], v12, off offset:32
.LBB3_77:
	s_or_b32 exec_lo, exec_lo, s0
	v_or_b32_e32 v10, 2, v9
	s_mov_b32 s0, exec_lo
	s_delay_alu instid0(VALU_DEP_1)
	v_cmpx_gt_i32_e64 s20, v10
	s_cbranch_execz .LBB3_79
; %bb.78:
	v_mul_lo_u32 v10, v10, s21
	s_ashr_i32 s2, s3, 31
	v_add_co_u32 v14, s4, s3, v29
	s_delay_alu instid0(VALU_DEP_1) | instskip(SKIP_2) | instid1(VALU_DEP_4)
	v_add_co_ci_u32_e64 v15, null, s2, 0, s4
	v_cvt_f16_f32_e32 v12, v2
	s_waitcnt lgkmcnt(0)
	v_ashrrev_i32_e32 v11, 31, v10
	s_delay_alu instid0(VALU_DEP_3) | instskip(NEXT) | instid1(VALU_DEP_2)
	v_lshlrev_b64 v[14:15], 1, v[14:15]
	v_lshlrev_b64 v[10:11], 1, v[10:11]
	s_delay_alu instid0(VALU_DEP_1) | instskip(NEXT) | instid1(VALU_DEP_2)
	v_add_co_u32 v10, vcc_lo, s28, v10
	v_add_co_ci_u32_e32 v11, vcc_lo, s29, v11, vcc_lo
	s_delay_alu instid0(VALU_DEP_2) | instskip(NEXT) | instid1(VALU_DEP_2)
	v_add_co_u32 v10, vcc_lo, v10, v14
	v_add_co_ci_u32_e32 v11, vcc_lo, v11, v15, vcc_lo
	global_store_b16 v[10:11], v12, off offset:32
.LBB3_79:
	s_or_b32 exec_lo, exec_lo, s0
	;; [unrolled: 26-line block ×7, first 2 shown]
	v_or_b32_e32 v9, 14, v9
	s_delay_alu instid0(VALU_DEP_1)
	v_cmp_gt_i32_e32 vcc_lo, s20, v9
	s_and_b32 exec_lo, exec_lo, vcc_lo
	s_cbranch_execz .LBB3_91
; %bb.90:
	v_mul_lo_u32 v9, v9, s21
	s_ashr_i32 s0, s3, 31
	s_waitcnt lgkmcnt(0)
	v_add_co_u32 v11, s2, s3, v29
	s_delay_alu instid0(VALU_DEP_1) | instskip(NEXT) | instid1(VALU_DEP_3)
	v_add_co_ci_u32_e64 v12, null, s0, 0, s2
	v_ashrrev_i32_e32 v10, 31, v9
	s_delay_alu instid0(VALU_DEP_2) | instskip(NEXT) | instid1(VALU_DEP_2)
	v_lshlrev_b64 v[11:12], 1, v[11:12]
	v_lshlrev_b64 v[9:10], 1, v[9:10]
	s_delay_alu instid0(VALU_DEP_1) | instskip(NEXT) | instid1(VALU_DEP_2)
	v_add_co_u32 v9, vcc_lo, s28, v9
	v_add_co_ci_u32_e32 v10, vcc_lo, s29, v10, vcc_lo
	s_delay_alu instid0(VALU_DEP_2) | instskip(NEXT) | instid1(VALU_DEP_2)
	v_add_co_u32 v9, vcc_lo, v9, v11
	v_add_co_ci_u32_e32 v10, vcc_lo, v10, v12, vcc_lo
	v_cvt_f16_f32_e32 v11, v8
	global_store_b16 v[9:10], v11, off offset:32
.LBB3_91:
	s_or_b32 exec_lo, exec_lo, s1
	s_mov_b32 s1, 0
.LBB3_92:
	s_delay_alu instid0(SALU_CYCLE_1)
	s_and_not1_b32 vcc_lo, exec_lo, s1
	s_cbranch_vccnz .LBB3_125
; %bb.93:
	v_xor_b32_e32 v9, 1, v24
	s_delay_alu instid0(VALU_DEP_1) | instskip(SKIP_2) | instid1(VALU_DEP_2)
	v_cmp_gt_i32_e32 vcc_lo, 32, v9
	v_cndmask_b32_e32 v9, v24, v9, vcc_lo
	v_cmp_eq_u32_e32 vcc_lo, 0, v0
	v_lshlrev_b32_e32 v14, 2, v9
	s_waitcnt lgkmcnt(0)
	ds_bpermute_b32 v11, v14, v1
	s_and_saveexec_b32 s2, vcc_lo
	s_cbranch_execz .LBB3_97
; %bb.94:
	v_or_b32_e32 v0, v23, v30
	v_cmp_gt_i32_e64 s1, s21, v13
	s_delay_alu instid0(VALU_DEP_2) | instskip(NEXT) | instid1(VALU_DEP_1)
	v_cmp_gt_i32_e64 s0, s20, v0
	s_and_b32 s0, s0, s1
	s_delay_alu instid0(SALU_CYCLE_1)
	s_and_b32 exec_lo, exec_lo, s0
	s_cbranch_execz .LBB3_97
; %bb.95:
	v_mul_lo_u32 v9, v0, s21
	s_ashr_i32 s0, s3, 31
	v_add_co_u32 v15, s1, s3, v29
	s_delay_alu instid0(VALU_DEP_1) | instskip(SKIP_1) | instid1(VALU_DEP_3)
	v_add_co_ci_u32_e64 v16, null, s0, 0, s1
	s_mov_b32 s1, 0
	v_ashrrev_i32_e32 v10, 31, v9
	s_delay_alu instid0(VALU_DEP_2) | instskip(NEXT) | instid1(VALU_DEP_2)
	v_lshlrev_b64 v[15:16], 1, v[15:16]
	v_lshlrev_b64 v[9:10], 1, v[9:10]
	s_delay_alu instid0(VALU_DEP_1) | instskip(NEXT) | instid1(VALU_DEP_1)
	v_add_co_u32 v0, s0, s28, v9
	v_add_co_ci_u32_e64 v10, s0, s29, v10, s0
	s_delay_alu instid0(VALU_DEP_2) | instskip(NEXT) | instid1(VALU_DEP_1)
	v_add_co_u32 v9, s0, v0, v15
	v_add_co_ci_u32_e64 v10, s0, v10, v16, s0
	v_cvt_f16_f32_e32 v0, v1
	s_waitcnt lgkmcnt(0)
	v_cvt_f16_f32_e32 v1, v11
	global_load_b32 v12, v[9:10], off offset:32
	v_pack_b32_f16 v0, v0, v1
.LBB3_96:                               ; =>This Inner Loop Header: Depth=1
	s_waitcnt vmcnt(0)
	s_delay_alu instid0(VALU_DEP_1) | instskip(SKIP_4) | instid1(VALU_DEP_2)
	v_pk_add_f16 v11, v0, v12
	global_atomic_cmpswap_b32 v1, v[9:10], v[11:12], off offset:32 glc
	s_waitcnt vmcnt(0)
	v_cmp_eq_u32_e64 s0, v1, v12
	v_mov_b32_e32 v12, v1
	s_or_b32 s1, s0, s1
	s_delay_alu instid0(SALU_CYCLE_1)
	s_and_not1_b32 exec_lo, exec_lo, s1
	s_cbranch_execnz .LBB3_96
.LBB3_97:
	s_or_b32 exec_lo, exec_lo, s2
	ds_bpermute_b32 v9, v14, v2
	s_and_saveexec_b32 s2, vcc_lo
	s_cbranch_execz .LBB3_101
; %bb.98:
	v_or3_b32 v0, v30, v23, 2
	v_cmp_gt_i32_e64 s1, s21, v13
	s_delay_alu instid0(VALU_DEP_2) | instskip(NEXT) | instid1(VALU_DEP_1)
	v_cmp_gt_i32_e64 s0, s20, v0
	s_and_b32 s0, s0, s1
	s_delay_alu instid0(SALU_CYCLE_1)
	s_and_b32 exec_lo, exec_lo, s0
	s_cbranch_execz .LBB3_101
; %bb.99:
	v_mul_lo_u32 v0, v0, s21
	s_ashr_i32 s0, s3, 31
	v_add_co_u32 v10, s1, s3, v29
	s_waitcnt lgkmcnt(1)
	v_add_co_ci_u32_e64 v11, null, s0, 0, s1
	v_cvt_f16_f32_e32 v2, v2
	s_waitcnt lgkmcnt(0)
	v_cvt_f16_f32_e32 v9, v9
	v_ashrrev_i32_e32 v1, 31, v0
	v_lshlrev_b64 v[10:11], 1, v[10:11]
	s_mov_b32 s1, 0
	s_delay_alu instid0(VALU_DEP_3) | instskip(NEXT) | instid1(VALU_DEP_3)
	v_pack_b32_f16 v2, v2, v9
	v_lshlrev_b64 v[0:1], 1, v[0:1]
	s_delay_alu instid0(VALU_DEP_1) | instskip(NEXT) | instid1(VALU_DEP_1)
	v_add_co_u32 v0, s0, s28, v0
	v_add_co_ci_u32_e64 v1, s0, s29, v1, s0
	s_delay_alu instid0(VALU_DEP_2) | instskip(NEXT) | instid1(VALU_DEP_1)
	v_add_co_u32 v0, s0, v0, v10
	v_add_co_ci_u32_e64 v1, s0, v1, v11, s0
	global_load_b32 v10, v[0:1], off offset:32
.LBB3_100:                              ; =>This Inner Loop Header: Depth=1
	s_waitcnt vmcnt(0)
	v_pk_add_f16 v9, v2, v10
	global_atomic_cmpswap_b32 v9, v[0:1], v[9:10], off offset:32 glc
	s_waitcnt vmcnt(0)
	v_cmp_eq_u32_e64 s0, v9, v10
	v_mov_b32_e32 v10, v9
	s_delay_alu instid0(VALU_DEP_2) | instskip(NEXT) | instid1(SALU_CYCLE_1)
	s_or_b32 s1, s0, s1
	s_and_not1_b32 exec_lo, exec_lo, s1
	s_cbranch_execnz .LBB3_100
.LBB3_101:
	s_or_b32 exec_lo, exec_lo, s2
	ds_bpermute_b32 v2, v14, v3
	s_and_saveexec_b32 s2, vcc_lo
	s_cbranch_execz .LBB3_105
; %bb.102:
	v_or3_b32 v0, v30, v23, 4
	v_cmp_gt_i32_e64 s1, s21, v13
	s_delay_alu instid0(VALU_DEP_2) | instskip(NEXT) | instid1(VALU_DEP_1)
	v_cmp_gt_i32_e64 s0, s20, v0
	s_and_b32 s0, s0, s1
	s_delay_alu instid0(SALU_CYCLE_1)
	s_and_b32 exec_lo, exec_lo, s0
	s_cbranch_execz .LBB3_105
; %bb.103:
	v_mul_lo_u32 v0, v0, s21
	s_ashr_i32 s0, s3, 31
	s_waitcnt lgkmcnt(1)
	v_add_co_u32 v9, s1, s3, v29
	s_delay_alu instid0(VALU_DEP_1)
	v_add_co_ci_u32_e64 v10, null, s0, 0, s1
	v_cvt_f16_f32_e32 v3, v3
	s_waitcnt lgkmcnt(0)
	v_cvt_f16_f32_e32 v2, v2
	v_ashrrev_i32_e32 v1, 31, v0
	v_lshlrev_b64 v[9:10], 1, v[9:10]
	s_mov_b32 s1, 0
	s_delay_alu instid0(VALU_DEP_3) | instskip(NEXT) | instid1(VALU_DEP_3)
	v_pack_b32_f16 v2, v3, v2
	v_lshlrev_b64 v[0:1], 1, v[0:1]
	s_delay_alu instid0(VALU_DEP_1) | instskip(NEXT) | instid1(VALU_DEP_1)
	v_add_co_u32 v0, s0, s28, v0
	v_add_co_ci_u32_e64 v1, s0, s29, v1, s0
	s_delay_alu instid0(VALU_DEP_2) | instskip(NEXT) | instid1(VALU_DEP_1)
	v_add_co_u32 v0, s0, v0, v9
	v_add_co_ci_u32_e64 v1, s0, v1, v10, s0
	global_load_b32 v10, v[0:1], off offset:32
.LBB3_104:                              ; =>This Inner Loop Header: Depth=1
	s_waitcnt vmcnt(0)
	v_pk_add_f16 v9, v2, v10
	global_atomic_cmpswap_b32 v3, v[0:1], v[9:10], off offset:32 glc
	s_waitcnt vmcnt(0)
	v_cmp_eq_u32_e64 s0, v3, v10
	v_mov_b32_e32 v10, v3
	s_delay_alu instid0(VALU_DEP_2) | instskip(NEXT) | instid1(SALU_CYCLE_1)
	s_or_b32 s1, s0, s1
	s_and_not1_b32 exec_lo, exec_lo, s1
	s_cbranch_execnz .LBB3_104
.LBB3_105:
	s_or_b32 exec_lo, exec_lo, s2
	s_waitcnt lgkmcnt(0)
	ds_bpermute_b32 v2, v14, v4
	s_and_saveexec_b32 s2, vcc_lo
	s_cbranch_execz .LBB3_109
; %bb.106:
	v_or3_b32 v0, v30, v23, 6
	v_cmp_gt_i32_e64 s1, s21, v13
	s_delay_alu instid0(VALU_DEP_2) | instskip(NEXT) | instid1(VALU_DEP_1)
	v_cmp_gt_i32_e64 s0, s20, v0
	s_and_b32 s0, s0, s1
	s_delay_alu instid0(SALU_CYCLE_1)
	s_and_b32 exec_lo, exec_lo, s0
	s_cbranch_execz .LBB3_109
; %bb.107:
	v_mul_lo_u32 v0, v0, s21
	s_ashr_i32 s0, s3, 31
	v_add_co_u32 v9, s1, s3, v29
	s_delay_alu instid0(VALU_DEP_1)
	v_add_co_ci_u32_e64 v10, null, s0, 0, s1
	v_cvt_f16_f32_e32 v4, v4
	s_waitcnt lgkmcnt(0)
	v_cvt_f16_f32_e32 v2, v2
	v_ashrrev_i32_e32 v1, 31, v0
	v_lshlrev_b64 v[9:10], 1, v[9:10]
	s_mov_b32 s1, 0
	s_delay_alu instid0(VALU_DEP_3) | instskip(NEXT) | instid1(VALU_DEP_3)
	v_pack_b32_f16 v4, v4, v2
	v_lshlrev_b64 v[0:1], 1, v[0:1]
	s_delay_alu instid0(VALU_DEP_1) | instskip(NEXT) | instid1(VALU_DEP_1)
	v_add_co_u32 v0, s0, s28, v0
	v_add_co_ci_u32_e64 v1, s0, s29, v1, s0
	s_delay_alu instid0(VALU_DEP_2) | instskip(NEXT) | instid1(VALU_DEP_1)
	v_add_co_u32 v0, s0, v0, v9
	v_add_co_ci_u32_e64 v1, s0, v1, v10, s0
	global_load_b32 v3, v[0:1], off offset:32
.LBB3_108:                              ; =>This Inner Loop Header: Depth=1
	s_waitcnt vmcnt(0)
	v_pk_add_f16 v2, v4, v3
	global_atomic_cmpswap_b32 v2, v[0:1], v[2:3], off offset:32 glc
	s_waitcnt vmcnt(0)
	v_cmp_eq_u32_e64 s0, v2, v3
	v_mov_b32_e32 v3, v2
	s_delay_alu instid0(VALU_DEP_2) | instskip(NEXT) | instid1(SALU_CYCLE_1)
	s_or_b32 s1, s0, s1
	s_and_not1_b32 exec_lo, exec_lo, s1
	s_cbranch_execnz .LBB3_108
.LBB3_109:
	s_or_b32 exec_lo, exec_lo, s2
	s_waitcnt lgkmcnt(0)
	ds_bpermute_b32 v2, v14, v5
	s_and_saveexec_b32 s2, vcc_lo
	s_cbranch_execz .LBB3_113
; %bb.110:
	v_or3_b32 v0, v30, v23, 8
	v_cmp_gt_i32_e64 s1, s21, v13
	s_delay_alu instid0(VALU_DEP_2) | instskip(NEXT) | instid1(VALU_DEP_1)
	v_cmp_gt_i32_e64 s0, s20, v0
	s_and_b32 s0, s0, s1
	s_delay_alu instid0(SALU_CYCLE_1)
	s_and_b32 exec_lo, exec_lo, s0
	s_cbranch_execz .LBB3_113
; %bb.111:
	v_mul_lo_u32 v0, v0, s21
	s_ashr_i32 s0, s3, 31
	v_add_co_u32 v3, s1, s3, v29
	s_delay_alu instid0(VALU_DEP_1) | instskip(SKIP_3) | instid1(VALU_DEP_4)
	v_add_co_ci_u32_e64 v4, null, s0, 0, s1
	s_waitcnt lgkmcnt(0)
	v_cvt_f16_f32_e32 v2, v2
	s_mov_b32 s1, 0
	v_ashrrev_i32_e32 v1, 31, v0
	v_lshlrev_b64 v[3:4], 1, v[3:4]
	s_delay_alu instid0(VALU_DEP_2) | instskip(NEXT) | instid1(VALU_DEP_1)
	v_lshlrev_b64 v[0:1], 1, v[0:1]
	v_add_co_u32 v0, s0, s28, v0
	s_delay_alu instid0(VALU_DEP_1) | instskip(NEXT) | instid1(VALU_DEP_2)
	v_add_co_ci_u32_e64 v1, s0, s29, v1, s0
	v_add_co_u32 v0, s0, v0, v3
	s_delay_alu instid0(VALU_DEP_1)
	v_add_co_ci_u32_e64 v1, s0, v1, v4, s0
	v_cvt_f16_f32_e32 v4, v5
	global_load_b32 v3, v[0:1], off offset:32
	v_pack_b32_f16 v4, v4, v2
.LBB3_112:                              ; =>This Inner Loop Header: Depth=1
	s_waitcnt vmcnt(0)
	s_delay_alu instid0(VALU_DEP_1) | instskip(SKIP_4) | instid1(VALU_DEP_2)
	v_pk_add_f16 v2, v4, v3
	global_atomic_cmpswap_b32 v2, v[0:1], v[2:3], off offset:32 glc
	s_waitcnt vmcnt(0)
	v_cmp_eq_u32_e64 s0, v2, v3
	v_mov_b32_e32 v3, v2
	s_or_b32 s1, s0, s1
	s_delay_alu instid0(SALU_CYCLE_1)
	s_and_not1_b32 exec_lo, exec_lo, s1
	s_cbranch_execnz .LBB3_112
.LBB3_113:
	s_or_b32 exec_lo, exec_lo, s2
	s_waitcnt lgkmcnt(0)
	ds_bpermute_b32 v2, v14, v6
	s_and_saveexec_b32 s2, vcc_lo
	s_cbranch_execz .LBB3_117
; %bb.114:
	v_or3_b32 v0, v30, v23, 10
	v_cmp_gt_i32_e64 s1, s21, v13
	s_delay_alu instid0(VALU_DEP_2) | instskip(NEXT) | instid1(VALU_DEP_1)
	v_cmp_gt_i32_e64 s0, s20, v0
	s_and_b32 s0, s0, s1
	s_delay_alu instid0(SALU_CYCLE_1)
	s_and_b32 exec_lo, exec_lo, s0
	s_cbranch_execz .LBB3_117
; %bb.115:
	v_mul_lo_u32 v0, v0, s21
	s_ashr_i32 s0, s3, 31
	v_add_co_u32 v3, s1, s3, v29
	s_delay_alu instid0(VALU_DEP_1) | instskip(SKIP_3) | instid1(VALU_DEP_4)
	v_add_co_ci_u32_e64 v4, null, s0, 0, s1
	s_waitcnt lgkmcnt(0)
	v_cvt_f16_f32_e32 v2, v2
	s_mov_b32 s1, 0
	v_ashrrev_i32_e32 v1, 31, v0
	v_lshlrev_b64 v[3:4], 1, v[3:4]
	s_delay_alu instid0(VALU_DEP_2) | instskip(NEXT) | instid1(VALU_DEP_1)
	v_lshlrev_b64 v[0:1], 1, v[0:1]
	v_add_co_u32 v0, s0, s28, v0
	s_delay_alu instid0(VALU_DEP_1) | instskip(NEXT) | instid1(VALU_DEP_2)
	v_add_co_ci_u32_e64 v1, s0, s29, v1, s0
	v_add_co_u32 v0, s0, v0, v3
	s_delay_alu instid0(VALU_DEP_1)
	v_add_co_ci_u32_e64 v1, s0, v1, v4, s0
	v_cvt_f16_f32_e32 v4, v6
	global_load_b32 v3, v[0:1], off offset:32
	v_pack_b32_f16 v4, v4, v2
.LBB3_116:                              ; =>This Inner Loop Header: Depth=1
	s_waitcnt vmcnt(0)
	s_delay_alu instid0(VALU_DEP_1) | instskip(SKIP_4) | instid1(VALU_DEP_2)
	v_pk_add_f16 v2, v4, v3
	global_atomic_cmpswap_b32 v2, v[0:1], v[2:3], off offset:32 glc
	s_waitcnt vmcnt(0)
	v_cmp_eq_u32_e64 s0, v2, v3
	v_mov_b32_e32 v3, v2
	s_or_b32 s1, s0, s1
	s_delay_alu instid0(SALU_CYCLE_1)
	s_and_not1_b32 exec_lo, exec_lo, s1
	s_cbranch_execnz .LBB3_116
.LBB3_117:
	;; [unrolled: 49-line block ×3, first 2 shown]
	s_or_b32 exec_lo, exec_lo, s2
	s_waitcnt lgkmcnt(0)
	ds_bpermute_b32 v2, v14, v8
	s_and_saveexec_b32 s0, vcc_lo
	s_cbranch_execz .LBB3_125
; %bb.122:
	v_or3_b32 v0, v30, v23, 14
	v_cmp_gt_i32_e64 s0, s21, v13
	s_delay_alu instid0(VALU_DEP_2) | instskip(NEXT) | instid1(VALU_DEP_2)
	v_cmp_gt_i32_e32 vcc_lo, s20, v0
	s_and_b32 s0, vcc_lo, s0
	s_delay_alu instid0(SALU_CYCLE_1)
	s_and_b32 exec_lo, exec_lo, s0
	s_cbranch_execz .LBB3_125
; %bb.123:
	v_mul_lo_u32 v0, v0, s21
	s_ashr_i32 s0, s3, 31
	v_add_co_u32 v3, s1, s3, v29
	s_delay_alu instid0(VALU_DEP_1) | instskip(SKIP_3) | instid1(VALU_DEP_4)
	v_add_co_ci_u32_e64 v4, null, s0, 0, s1
	s_waitcnt lgkmcnt(0)
	v_cvt_f16_f32_e32 v2, v2
	s_mov_b32 s0, 0
	v_ashrrev_i32_e32 v1, 31, v0
	v_lshlrev_b64 v[3:4], 1, v[3:4]
	s_delay_alu instid0(VALU_DEP_2) | instskip(NEXT) | instid1(VALU_DEP_1)
	v_lshlrev_b64 v[0:1], 1, v[0:1]
	v_add_co_u32 v0, vcc_lo, s28, v0
	s_delay_alu instid0(VALU_DEP_2) | instskip(NEXT) | instid1(VALU_DEP_2)
	v_add_co_ci_u32_e32 v1, vcc_lo, s29, v1, vcc_lo
	v_add_co_u32 v0, vcc_lo, v0, v3
	s_delay_alu instid0(VALU_DEP_2)
	v_add_co_ci_u32_e32 v1, vcc_lo, v1, v4, vcc_lo
	v_cvt_f16_f32_e32 v4, v8
	global_load_b32 v3, v[0:1], off offset:32
	v_pack_b32_f16 v4, v4, v2
.LBB3_124:                              ; =>This Inner Loop Header: Depth=1
	s_waitcnt vmcnt(0)
	s_delay_alu instid0(VALU_DEP_1)
	v_pk_add_f16 v2, v4, v3
	global_atomic_cmpswap_b32 v2, v[0:1], v[2:3], off offset:32 glc
	s_waitcnt vmcnt(0)
	v_cmp_eq_u32_e32 vcc_lo, v2, v3
	v_mov_b32_e32 v3, v2
	s_or_b32 s0, vcc_lo, s0
	s_delay_alu instid0(SALU_CYCLE_1)
	s_and_not1_b32 exec_lo, exec_lo, s0
	s_cbranch_execnz .LBB3_124
.LBB3_125:
	s_nop 0
	s_sendmsg sendmsg(MSG_DEALLOC_VGPRS)
	s_endpgm
	.section	.rodata,"a",@progbits
	.p2align	6, 0x0
	.amdhsa_kernel _ZN4vllm15gptq_rdna3_wmma28gemm_q4_wmma_kernel_64x32_4wI6__halfEEvPKT_PKjS7_S5_PS3_iiiiiPKi
		.amdhsa_group_segment_fixed_size 2048
		.amdhsa_private_segment_fixed_size 0
		.amdhsa_kernarg_size 328
		.amdhsa_user_sgpr_count 13
		.amdhsa_user_sgpr_dispatch_ptr 0
		.amdhsa_user_sgpr_queue_ptr 0
		.amdhsa_user_sgpr_kernarg_segment_ptr 1
		.amdhsa_user_sgpr_dispatch_id 0
		.amdhsa_user_sgpr_private_segment_size 0
		.amdhsa_wavefront_size32 1
		.amdhsa_uses_dynamic_stack 0
		.amdhsa_enable_private_segment 0
		.amdhsa_system_sgpr_workgroup_id_x 1
		.amdhsa_system_sgpr_workgroup_id_y 1
		.amdhsa_system_sgpr_workgroup_id_z 1
		.amdhsa_system_sgpr_workgroup_info 0
		.amdhsa_system_vgpr_workitem_id 0
		.amdhsa_next_free_vgpr 54
		.amdhsa_next_free_sgpr 56
		.amdhsa_reserve_vcc 1
		.amdhsa_float_round_mode_32 0
		.amdhsa_float_round_mode_16_64 0
		.amdhsa_float_denorm_mode_32 3
		.amdhsa_float_denorm_mode_16_64 3
		.amdhsa_dx10_clamp 1
		.amdhsa_ieee_mode 1
		.amdhsa_fp16_overflow 0
		.amdhsa_workgroup_processor_mode 1
		.amdhsa_memory_ordered 1
		.amdhsa_forward_progress 0
		.amdhsa_shared_vgpr_count 0
		.amdhsa_exception_fp_ieee_invalid_op 0
		.amdhsa_exception_fp_denorm_src 0
		.amdhsa_exception_fp_ieee_div_zero 0
		.amdhsa_exception_fp_ieee_overflow 0
		.amdhsa_exception_fp_ieee_underflow 0
		.amdhsa_exception_fp_ieee_inexact 0
		.amdhsa_exception_int_div_zero 0
	.end_amdhsa_kernel
	.section	.text._ZN4vllm15gptq_rdna3_wmma28gemm_q4_wmma_kernel_64x32_4wI6__halfEEvPKT_PKjS7_S5_PS3_iiiiiPKi,"axG",@progbits,_ZN4vllm15gptq_rdna3_wmma28gemm_q4_wmma_kernel_64x32_4wI6__halfEEvPKT_PKjS7_S5_PS3_iiiiiPKi,comdat
.Lfunc_end3:
	.size	_ZN4vllm15gptq_rdna3_wmma28gemm_q4_wmma_kernel_64x32_4wI6__halfEEvPKT_PKjS7_S5_PS3_iiiiiPKi, .Lfunc_end3-_ZN4vllm15gptq_rdna3_wmma28gemm_q4_wmma_kernel_64x32_4wI6__halfEEvPKT_PKjS7_S5_PS3_iiiiiPKi
                                        ; -- End function
	.section	.AMDGPU.csdata,"",@progbits
; Kernel info:
; codeLenInByte = 8840
; NumSgprs: 58
; NumVgprs: 54
; ScratchSize: 0
; MemoryBound: 1
; FloatMode: 240
; IeeeMode: 1
; LDSByteSize: 2048 bytes/workgroup (compile time only)
; SGPRBlocks: 7
; VGPRBlocks: 6
; NumSGPRsForWavesPerEU: 58
; NumVGPRsForWavesPerEU: 54
; Occupancy: 16
; WaveLimiterHint : 1
; COMPUTE_PGM_RSRC2:SCRATCH_EN: 0
; COMPUTE_PGM_RSRC2:USER_SGPR: 13
; COMPUTE_PGM_RSRC2:TRAP_HANDLER: 0
; COMPUTE_PGM_RSRC2:TGID_X_EN: 1
; COMPUTE_PGM_RSRC2:TGID_Y_EN: 1
; COMPUTE_PGM_RSRC2:TGID_Z_EN: 1
; COMPUTE_PGM_RSRC2:TIDIG_COMP_CNT: 0
	.section	.text._ZN4vllm15gptq_rdna3_wmma30gemm_q4_wmma_kernel_128x64_k32I6__halfEEvPKT_PKjS7_S5_PS3_iiiiiPKi,"axG",@progbits,_ZN4vllm15gptq_rdna3_wmma30gemm_q4_wmma_kernel_128x64_k32I6__halfEEvPKT_PKjS7_S5_PS3_iiiiiPKi,comdat
	.protected	_ZN4vllm15gptq_rdna3_wmma30gemm_q4_wmma_kernel_128x64_k32I6__halfEEvPKT_PKjS7_S5_PS3_iiiiiPKi ; -- Begin function _ZN4vllm15gptq_rdna3_wmma30gemm_q4_wmma_kernel_128x64_k32I6__halfEEvPKT_PKjS7_S5_PS3_iiiiiPKi
	.globl	_ZN4vllm15gptq_rdna3_wmma30gemm_q4_wmma_kernel_128x64_k32I6__halfEEvPKT_PKjS7_S5_PS3_iiiiiPKi
	.p2align	8
	.type	_ZN4vllm15gptq_rdna3_wmma30gemm_q4_wmma_kernel_128x64_k32I6__halfEEvPKT_PKjS7_S5_PS3_iiiiiPKi,@function
_ZN4vllm15gptq_rdna3_wmma30gemm_q4_wmma_kernel_128x64_k32I6__halfEEvPKT_PKjS7_S5_PS3_iiiiiPKi: ; @_ZN4vllm15gptq_rdna3_wmma30gemm_q4_wmma_kernel_128x64_k32I6__halfEEvPKT_PKjS7_S5_PS3_iiiiiPKi
; %bb.0:
	s_load_b128 s[16:19], s[0:1], 0x28
	s_lshl_b32 s22, s14, 7
	s_lshl_b32 s14, s13, 6
	s_waitcnt lgkmcnt(0)
	s_cmp_ge_i32 s22, s16
	s_cselect_b32 s2, -1, 0
	s_cmp_ge_i32 s14, s17
	s_cselect_b32 s3, -1, 0
	s_delay_alu instid0(SALU_CYCLE_1) | instskip(NEXT) | instid1(SALU_CYCLE_1)
	s_or_b32 s2, s2, s3
	s_and_b32 vcc_lo, exec_lo, s2
	s_cbranch_vccnz .LBB4_226
; %bb.1:
	s_load_b32 s20, s[0:1], 0x50
	s_abs_i32 s12, s19
	s_clause 0x1
	s_load_b64 s[2:3], s[0:1], 0x20
	s_load_b32 s21, s[0:1], 0x38
	v_cvt_f32_u32_e32 v1, s12
	s_load_b256 s[4:11], s[0:1], 0x0
	s_xor_b32 s1, s18, s19
	s_sub_i32 s19, 0, s12
	s_abs_i32 s13, s18
	v_rcp_iflag_f32_e32 v1, v1
	s_ashr_i32 s1, s1, 31
	v_dual_mov_b32 v58, 0 :: v_dual_and_b32 v53, 15, v0
	v_cmp_lt_u32_e32 vcc_lo, 0x7f, v0
	v_bfe_u32 v54, v0, 4, 1
	v_mov_b32_e32 v57, 0
	v_cndmask_b32_e64 v3, 0, 1, vcc_lo
	s_waitcnt lgkmcnt(0)
	v_cvt_f32_u32_e32 v2, s20
	s_delay_alu instid0(VALU_DEP_2) | instskip(SKIP_1) | instid1(VALU_DEP_3)
	v_lshl_or_b32 v56, v3, 1, v54
	v_mov_b32_e32 v59, -1
	v_rcp_iflag_f32_e32 v2, v2
	s_delay_alu instid0(VALU_DEP_2) | instskip(SKIP_3) | instid1(VALU_DEP_2)
	v_dual_mul_f32 v1, 0x4f7ffffe, v1 :: v_dual_lshlrev_b32 v34, 3, v56
	s_waitcnt_depctr 0xfff
	v_mul_f32_e32 v2, 0x4f7ffffe, v2
	v_cvt_u32_f32_e32 v1, v1
	v_cvt_u32_f32_e32 v2, v2
	s_delay_alu instid0(VALU_DEP_2) | instskip(SKIP_1) | instid1(VALU_DEP_3)
	v_readfirstlane_b32 s0, v1
	v_lshrrev_b32_e32 v1, 1, v0
	v_readfirstlane_b32 s24, v2
	s_delay_alu instid0(VALU_DEP_3) | instskip(NEXT) | instid1(VALU_DEP_2)
	s_mul_i32 s19, s19, s0
	v_and_or_b32 v33, v1, 48, v53
	s_mul_hi_u32 s19, s0, s19
	s_delay_alu instid0(SALU_CYCLE_1) | instskip(NEXT) | instid1(SALU_CYCLE_1)
	s_add_i32 s0, s0, s19
	s_mul_hi_u32 s0, s13, s0
	s_delay_alu instid0(VALU_DEP_1) | instskip(SKIP_1) | instid1(SALU_CYCLE_1)
	v_or_b32_e32 v49, s14, v33
	s_mul_i32 s19, s0, s12
	s_sub_i32 s13, s13, s19
	s_add_i32 s19, s0, 1
	s_sub_i32 s23, s13, s12
	s_cmp_ge_u32 s13, s12
	s_cselect_b32 s0, s19, s0
	s_cselect_b32 s13, s23, s13
	s_add_i32 s19, s0, 1
	s_cmp_ge_u32 s13, s12
	s_cselect_b32 s12, s19, s0
	s_sub_i32 s0, 0, s20
	s_xor_b32 s12, s12, s1
	s_mul_i32 s0, s0, s24
	s_sub_i32 s1, s12, s1
	s_mul_hi_u32 s0, s24, s0
	s_delay_alu instid0(SALU_CYCLE_1) | instskip(SKIP_2) | instid1(SALU_CYCLE_1)
	s_add_i32 s24, s24, s0
	v_cmp_le_i32_e64 s0, s17, v49
	s_mul_hi_u32 s13, s18, s24
	s_mul_i32 s19, s13, s20
	s_delay_alu instid0(SALU_CYCLE_1)
	s_sub_i32 s12, s18, s19
	s_add_i32 s19, s13, 1
	s_sub_i32 s23, s12, s20
	s_cmp_ge_u32 s12, s20
	s_cselect_b32 s13, s19, s13
	s_cselect_b32 s12, s23, s12
	s_add_i32 s19, s13, 1
	s_cmp_ge_u32 s12, s20
	s_cselect_b32 s13, s19, s13
	s_delay_alu instid0(SALU_CYCLE_1)
	s_mul_i32 s12, s13, s15
	s_mov_b32 s15, exec_lo
	v_cmpx_gt_i32_e64 s17, v49
	s_cbranch_execz .LBB4_5
; %bb.2:
	s_abs_i32 s19, s1
	s_abs_i32 s25, s12
	v_cvt_f32_u32_e32 v2, s19
	s_sub_i32 s24, 0, s19
	v_dual_mov_b32 v58, 0 :: v_dual_mov_b32 v57, 0
	s_delay_alu instid0(VALU_DEP_2) | instskip(SKIP_2) | instid1(VALU_DEP_1)
	v_rcp_iflag_f32_e32 v2, v2
	s_waitcnt_depctr 0xfff
	v_mul_f32_e32 v2, 0x4f7ffffe, v2
	v_cvt_u32_f32_e32 v2, v2
	s_delay_alu instid0(VALU_DEP_1) | instskip(NEXT) | instid1(VALU_DEP_1)
	v_readfirstlane_b32 s23, v2
	s_mul_i32 s24, s24, s23
	s_delay_alu instid0(SALU_CYCLE_1) | instskip(NEXT) | instid1(SALU_CYCLE_1)
	s_mul_hi_u32 s24, s23, s24
	s_add_i32 s23, s23, s24
	s_xor_b32 s24, s12, s1
	s_mul_hi_u32 s23, s25, s23
	s_ashr_i32 s24, s24, 31
	s_mul_i32 s26, s23, s19
	s_delay_alu instid0(SALU_CYCLE_1)
	s_sub_i32 s25, s25, s26
	s_add_i32 s26, s23, 1
	s_sub_i32 s27, s25, s19
	s_cmp_ge_u32 s25, s19
	s_cselect_b32 s23, s26, s23
	s_cselect_b32 s25, s27, s25
	s_add_i32 s26, s23, 1
	s_cmp_ge_u32 s25, s19
	s_cselect_b32 s19, s26, s23
	s_delay_alu instid0(SALU_CYCLE_1) | instskip(NEXT) | instid1(SALU_CYCLE_1)
	s_xor_b32 s19, s19, s24
	s_sub_i32 s19, s19, s24
	s_delay_alu instid0(SALU_CYCLE_1)
	s_cmp_eq_u32 s19, -1
	s_cbranch_scc1 .LBB4_4
; %bb.3:
	v_ashrrev_i32_e32 v2, 31, v49
	s_ashr_i32 s23, s17, 31
	s_delay_alu instid0(SALU_CYCLE_1) | instskip(NEXT) | instid1(SALU_CYCLE_1)
	s_lshr_b32 s23, s23, 29
	s_add_i32 s23, s17, s23
	s_delay_alu instid0(VALU_DEP_1) | instskip(SKIP_1) | instid1(VALU_DEP_1)
	v_lshrrev_b32_e32 v2, 29, v2
	s_ashr_i32 s23, s23, 3
	v_add_nc_u32_e32 v2, v49, v2
	s_delay_alu instid0(VALU_DEP_1) | instskip(NEXT) | instid1(VALU_DEP_1)
	v_ashrrev_i32_e32 v2, 3, v2
	v_mad_u64_u32 v[3:4], null, s19, s23, v[2:3]
	s_delay_alu instid0(VALU_DEP_1) | instskip(NEXT) | instid1(VALU_DEP_1)
	v_ashrrev_i32_e32 v4, 31, v3
	v_lshlrev_b64 v[2:3], 2, v[3:4]
	v_mad_u64_u32 v[4:5], null, s19, s17, v[49:50]
	s_delay_alu instid0(VALU_DEP_2) | instskip(NEXT) | instid1(VALU_DEP_3)
	v_add_co_u32 v2, vcc_lo, s8, v2
	v_add_co_ci_u32_e32 v3, vcc_lo, s9, v3, vcc_lo
	s_delay_alu instid0(VALU_DEP_3) | instskip(SKIP_2) | instid1(VALU_DEP_1)
	v_ashrrev_i32_e32 v5, 31, v4
	global_load_b32 v6, v[2:3], off
	v_lshlrev_b64 v[2:3], 1, v[4:5]
	v_add_co_u32 v2, vcc_lo, s10, v2
	s_delay_alu instid0(VALU_DEP_2) | instskip(SKIP_2) | instid1(VALU_DEP_1)
	v_add_co_ci_u32_e32 v3, vcc_lo, s11, v3, vcc_lo
	global_load_u16 v2, v[2:3], off
	v_lshlrev_b32_e32 v3, 2, v0
	v_and_b32_e32 v3, 28, v3
	s_waitcnt vmcnt(1)
	s_delay_alu instid0(VALU_DEP_1) | instskip(NEXT) | instid1(VALU_DEP_1)
	v_bfe_u32 v3, v6, v3, 4
	v_add_nc_u32_e32 v3, s21, v3
	s_delay_alu instid0(VALU_DEP_1) | instskip(SKIP_2) | instid1(VALU_DEP_2)
	v_or_b32_e32 v3, 0x6400, v3
	s_waitcnt vmcnt(0)
	v_perm_b32 v58, v2, v2, 0x5040100
	v_perm_b32 v57, v3, v3, 0x5040100
.LBB4_4:
	s_ashr_i32 s23, s12, 31
	v_lshlrev_b32_e32 v6, 1, v34
	s_lshr_b32 s23, s23, 29
	v_mov_b32_e32 v59, s19
	s_add_i32 s23, s12, s23
	s_delay_alu instid0(SALU_CYCLE_1) | instskip(SKIP_3) | instid1(VALU_DEP_1)
	s_ashr_i32 s23, s23, 3
	v_mad_u32_u24 v6, 0x44, v33, v6
	v_add_nc_u32_e32 v4, s23, v56
	s_mov_b32 s23, 0xf000f
	v_mad_u64_u32 v[2:3], null, v4, s17, v[49:50]
	s_delay_alu instid0(VALU_DEP_1) | instskip(NEXT) | instid1(VALU_DEP_1)
	v_ashrrev_i32_e32 v3, 31, v2
	v_lshlrev_b64 v[2:3], 2, v[2:3]
	s_delay_alu instid0(VALU_DEP_1) | instskip(NEXT) | instid1(VALU_DEP_2)
	v_add_co_u32 v2, vcc_lo, s6, v2
	v_add_co_ci_u32_e32 v3, vcc_lo, s7, v3, vcc_lo
	global_load_b32 v2, v[2:3], off
	s_waitcnt vmcnt(0)
	v_lshrrev_b32_e32 v3, 4, v2
	v_lshrrev_b32_e32 v4, 8, v2
	;; [unrolled: 1-line block ×3, first 2 shown]
	v_and_or_b32 v2, v2, s23, 0x64006400
	s_delay_alu instid0(VALU_DEP_4) | instskip(NEXT) | instid1(VALU_DEP_4)
	v_and_or_b32 v3, v3, s23, 0x64006400
	v_and_or_b32 v4, v4, s23, 0x64006400
	s_delay_alu instid0(VALU_DEP_4) | instskip(NEXT) | instid1(VALU_DEP_4)
	v_and_or_b32 v5, v5, s23, 0x64006400
	v_pk_add_f16 v2, v2, v57 neg_lo:[0,1] neg_hi:[0,1]
	s_delay_alu instid0(VALU_DEP_4) | instskip(NEXT) | instid1(VALU_DEP_4)
	v_pk_add_f16 v3, v3, v57 neg_lo:[0,1] neg_hi:[0,1]
	v_pk_add_f16 v4, v4, v57 neg_lo:[0,1] neg_hi:[0,1]
	s_delay_alu instid0(VALU_DEP_4) | instskip(NEXT) | instid1(VALU_DEP_4)
	v_pk_add_f16 v5, v5, v57 neg_lo:[0,1] neg_hi:[0,1]
	v_pk_mul_f16 v2, v58, v2
	s_delay_alu instid0(VALU_DEP_4) | instskip(NEXT) | instid1(VALU_DEP_4)
	v_pk_mul_f16 v3, v58, v3
	v_pk_mul_f16 v4, v58, v4
	s_delay_alu instid0(VALU_DEP_4)
	v_pk_mul_f16 v5, v58, v5
	ds_store_2addr_b32 v6, v2, v3 offset1:1
	ds_store_2addr_b32 v6, v4, v5 offset0:2 offset1:3
.LBB4_5:
	s_or_b32 exec_lo, exec_lo, s15
	v_dual_mov_b32 v32, 0 :: v_dual_and_b32 v1, 0x1f0, v1
	s_cmp_lt_i32 s13, 1
	s_waitcnt lgkmcnt(0)
	s_barrier
	s_delay_alu instid0(VALU_DEP_1)
	v_dual_mov_b32 v30, v32 :: v_dual_add_nc_u32 v55, s22, v1
	v_mov_b32_e32 v31, v32
	v_mov_b32_e32 v29, v32
	;; [unrolled: 1-line block ×30, first 2 shown]
	s_mov_b32 s22, 0
	buffer_gl0_inv
	s_cbranch_scc1 .LBB4_15
; %bb.6:
	v_or_b32_e32 v3, v55, v53
	s_abs_i32 s15, s1
	v_ashrrev_i32_e32 v5, 31, v49
	v_cvt_f32_u32_e32 v2, s15
	s_ashr_i32 s23, s17, 31
	v_mul_lo_u32 v1, v3, s18
	v_dual_mov_b32 v25, 0 :: v_dual_lshlrev_b32 v6, 2, v0
	s_delay_alu instid0(VALU_DEP_3) | instskip(SKIP_4) | instid1(VALU_DEP_3)
	v_rcp_iflag_f32_e32 v4, v2
	v_lshrrev_b32_e32 v5, 29, v5
	s_ashr_i32 s19, s1, 31
	s_lshr_b32 s1, s23, 29
	s_sub_i32 s23, 0, s15
	v_ashrrev_i32_e32 v2, 31, v1
	s_add_i32 s1, s17, s1
	s_add_i32 s18, s12, s13
	s_ashr_i32 s13, s12, 31
	v_dual_mov_b32 v26, v25 :: v_dual_lshlrev_b32 v61, 1, v34
	v_lshlrev_b64 v[1:2], 1, v[1:2]
	s_waitcnt_depctr 0xfff
	v_mul_f32_e32 v4, 0x4f7ffffe, v4
	s_lshl_b64 s[24:25], s[12:13], 1
	v_mul_u32_u24_e32 v62, 0x44, v33
	v_mov_b32_e32 v28, v25
	v_mov_b32_e32 v29, v25
	v_add_co_u32 v1, vcc_lo, s4, v1
	v_add_co_ci_u32_e32 v2, vcc_lo, s5, v2, vcc_lo
	v_cmp_gt_i32_e32 vcc_lo, s16, v3
	v_add_nc_u32_e32 v3, v49, v5
	v_cvt_u32_f32_e32 v4, v4
	v_and_b32_e32 v60, 28, v6
	s_ashr_i32 s4, s1, 3
	v_dual_cndmask_b32 v1, 0, v1 :: v_dual_cndmask_b32 v2, 0, v2
	v_mov_b32_e32 v27, v25
	v_readfirstlane_b32 s5, v4
	v_ashrrev_i32_e32 v50, 3, v3
	v_mov_b32_e32 v30, v25
	v_cmp_ne_u64_e32 vcc_lo, 0, v[1:2]
	v_mov_b32_e32 v31, v25
	s_mul_i32 s23, s23, s5
	v_mov_b32_e32 v32, v25
	s_mul_hi_u32 s1, s5, s23
	v_mov_b32_e32 v17, v25
	s_add_i32 s5, s5, s1
	s_add_u32 s1, s24, 32
	s_addc_u32 s13, s25, 0
	v_add_co_u32 v51, s1, v1, s1
	s_delay_alu instid0(VALU_DEP_1)
	v_add_co_ci_u32_e64 v52, s1, s13, v2, s1
	v_mov_b32_e32 v18, v25
	v_mov_b32_e32 v19, v25
	;; [unrolled: 1-line block ×23, first 2 shown]
	s_add_i32 s13, s12, 32
	s_xor_b32 s1, s0, -1
	s_mov_b32 s12, 0xf000f
.LBB4_7:                                ; =>This Inner Loop Header: Depth=1
	s_cmp_lt_i32 s13, s18
	s_cselect_b32 s0, -1, 0
	s_delay_alu instid0(SALU_CYCLE_1) | instskip(NEXT) | instid1(SALU_CYCLE_1)
	s_and_b32 s0, s1, s0
	s_and_saveexec_b32 s23, s0
	s_cbranch_execz .LBB4_11
; %bb.8:                                ;   in Loop: Header=BB4_7 Depth=1
	s_abs_i32 s0, s13
	s_ashr_i32 s24, s13, 31
	s_mul_hi_u32 s25, s0, s5
	s_xor_b32 s27, s24, s19
	s_mul_i32 s26, s25, s15
	s_delay_alu instid0(SALU_CYCLE_1)
	s_sub_i32 s0, s0, s26
	s_add_i32 s26, s25, 1
	s_sub_i32 s28, s0, s15
	s_cmp_ge_u32 s0, s15
	s_cselect_b32 s25, s26, s25
	s_cselect_b32 s0, s28, s0
	s_add_i32 s26, s25, 1
	s_cmp_ge_u32 s0, s15
	s_cselect_b32 s0, s26, s25
	s_mov_b32 s25, exec_lo
	s_xor_b32 s0, s0, s27
	s_delay_alu instid0(SALU_CYCLE_1) | instskip(NEXT) | instid1(SALU_CYCLE_1)
	s_sub_i32 s26, s0, s27
	v_cmpx_ne_u32_e64 s26, v59
	s_cbranch_execz .LBB4_10
; %bb.9:                                ;   in Loop: Header=BB4_7 Depth=1
	v_mad_u64_u32 v[33:34], null, s26, s4, v[50:51]
	v_mad_u64_u32 v[35:36], null, s26, s17, v[49:50]
	v_mov_b32_e32 v59, s26
	s_delay_alu instid0(VALU_DEP_3) | instskip(NEXT) | instid1(VALU_DEP_3)
	v_ashrrev_i32_e32 v34, 31, v33
	v_ashrrev_i32_e32 v36, 31, v35
	s_delay_alu instid0(VALU_DEP_2) | instskip(NEXT) | instid1(VALU_DEP_1)
	v_lshlrev_b64 v[33:34], 2, v[33:34]
	v_add_co_u32 v33, s0, s8, v33
	s_delay_alu instid0(VALU_DEP_1) | instskip(SKIP_2) | instid1(VALU_DEP_1)
	v_add_co_ci_u32_e64 v34, s0, s9, v34, s0
	global_load_b32 v37, v[33:34], off
	v_lshlrev_b64 v[33:34], 1, v[35:36]
	v_add_co_u32 v33, s0, s10, v33
	s_delay_alu instid0(VALU_DEP_1) | instskip(SKIP_3) | instid1(VALU_DEP_1)
	v_add_co_ci_u32_e64 v34, s0, s11, v34, s0
	global_load_u16 v33, v[33:34], off
	s_waitcnt vmcnt(1)
	v_bfe_u32 v34, v37, v60, 4
	v_add_nc_u32_e32 v34, s21, v34
	s_delay_alu instid0(VALU_DEP_1) | instskip(SKIP_2) | instid1(VALU_DEP_2)
	v_or_b32_e32 v34, 0x6400, v34
	s_waitcnt vmcnt(0)
	v_perm_b32 v58, v33, v33, 0x5040100
	v_perm_b32 v57, v34, v34, 0x5040100
.LBB4_10:                               ;   in Loop: Header=BB4_7 Depth=1
	s_or_b32 exec_lo, exec_lo, s25
	s_lshr_b32 s0, s24, 29
	s_delay_alu instid0(SALU_CYCLE_1) | instskip(NEXT) | instid1(SALU_CYCLE_1)
	s_add_i32 s0, s13, s0
	s_ashr_i32 s0, s0, 3
	s_delay_alu instid0(SALU_CYCLE_1) | instskip(NEXT) | instid1(VALU_DEP_1)
	v_add_nc_u32_e32 v35, s0, v56
	v_mad_u64_u32 v[33:34], null, v35, s17, v[49:50]
	s_delay_alu instid0(VALU_DEP_1) | instskip(NEXT) | instid1(VALU_DEP_1)
	v_ashrrev_i32_e32 v34, 31, v33
	v_lshlrev_b64 v[33:34], 2, v[33:34]
	s_delay_alu instid0(VALU_DEP_1) | instskip(NEXT) | instid1(VALU_DEP_1)
	v_add_co_u32 v33, s0, s6, v33
	v_add_co_ci_u32_e64 v34, s0, s7, v34, s0
	s_sub_i32 s0, 0, s22
	s_delay_alu instid0(SALU_CYCLE_1) | instskip(SKIP_2) | instid1(VALU_DEP_1)
	s_mulk_i32 s0, 0x1100
	global_load_b32 v33, v[33:34], off
	v_add3_u32 v37, s0, v62, v61
	v_add_nc_u32_e32 v38, 0x1100, v37
	v_add_nc_u32_e32 v37, 0x1108, v37
	s_waitcnt vmcnt(0)
	v_lshrrev_b32_e32 v34, 4, v33
	v_lshrrev_b32_e32 v35, 8, v33
	;; [unrolled: 1-line block ×3, first 2 shown]
	v_and_or_b32 v33, v33, s12, 0x64006400
	s_delay_alu instid0(VALU_DEP_4) | instskip(NEXT) | instid1(VALU_DEP_4)
	v_and_or_b32 v34, v34, s12, 0x64006400
	v_and_or_b32 v35, v35, s12, 0x64006400
	s_delay_alu instid0(VALU_DEP_4) | instskip(NEXT) | instid1(VALU_DEP_4)
	v_and_or_b32 v36, v36, s12, 0x64006400
	v_pk_add_f16 v33, v33, v57 neg_lo:[0,1] neg_hi:[0,1]
	s_delay_alu instid0(VALU_DEP_4) | instskip(NEXT) | instid1(VALU_DEP_4)
	v_pk_add_f16 v34, v34, v57 neg_lo:[0,1] neg_hi:[0,1]
	v_pk_add_f16 v35, v35, v57 neg_lo:[0,1] neg_hi:[0,1]
	s_delay_alu instid0(VALU_DEP_4) | instskip(NEXT) | instid1(VALU_DEP_4)
	v_pk_add_f16 v36, v36, v57 neg_lo:[0,1] neg_hi:[0,1]
	v_pk_mul_f16 v33, v58, v33
	s_delay_alu instid0(VALU_DEP_4) | instskip(NEXT) | instid1(VALU_DEP_4)
	v_pk_mul_f16 v34, v58, v34
	v_pk_mul_f16 v35, v58, v35
	s_delay_alu instid0(VALU_DEP_4)
	v_pk_mul_f16 v36, v58, v36
	ds_store_2addr_b32 v38, v33, v34 offset1:1
	ds_store_2addr_b32 v37, v35, v36 offset1:1
.LBB4_11:                               ;   in Loop: Header=BB4_7 Depth=1
	s_or_b32 exec_lo, exec_lo, s23
	v_mov_b32_e32 v33, 0
	s_delay_alu instid0(VALU_DEP_1)
	v_mov_b32_e32 v34, v33
	v_mov_b32_e32 v35, v33
	;; [unrolled: 1-line block ×15, first 2 shown]
	s_and_saveexec_b32 s0, vcc_lo
; %bb.12:                               ;   in Loop: Header=BB4_7 Depth=1
	s_clause 0x3
	global_load_b128 v[41:44], v[51:52], off offset:-32
	global_load_b128 v[45:48], v[51:52], off offset:-16
	global_load_b128 v[33:36], v[51:52], off
	global_load_b128 v[37:40], v[51:52], off offset:16
; %bb.13:                               ;   in Loop: Header=BB4_7 Depth=1
	s_or_b32 exec_lo, exec_lo, s0
	s_mul_i32 s0, s22, 0x1100
	s_sub_i32 s22, 1, s22
	v_mad_u32_u24 v111, 0x44, v53, s0
	v_add_co_u32 v51, s0, v51, 64
	s_delay_alu instid0(VALU_DEP_1) | instskip(NEXT) | instid1(VALU_DEP_3)
	v_add_co_ci_u32_e64 v52, s0, 0, v52, s0
	v_add_nc_u32_e32 v71, 0x450, v111
	v_add_nc_u32_e32 v72, 0x448, v111
	;; [unrolled: 1-line block ×12, first 2 shown]
	ds_load_2addr_b32 v[69:70], v111 offset0:6 offset1:7
	ds_load_2addr_b32 v[67:68], v111 offset0:4 offset1:5
	;; [unrolled: 1-line block ×3, first 2 shown]
	ds_load_2addr_b32 v[63:64], v111 offset1:1
	ds_load_2addr_b32 v[73:74], v72 offset1:1
	;; [unrolled: 1-line block ×10, first 2 shown]
	v_add_nc_u32_e32 v96, 0x468, v111
	ds_load_2addr_b32 v[91:92], v87 offset1:1
	ds_load_2addr_b32 v[93:94], v93 offset1:1
	;; [unrolled: 1-line block ×3, first 2 shown]
	v_add_nc_u32_e32 v95, 0x470, v111
	v_add_nc_u32_e32 v101, 0x478, v111
	;; [unrolled: 1-line block ×6, first 2 shown]
	ds_load_2addr_b32 v[97:98], v96 offset1:1
	ds_load_2addr_b32 v[99:100], v95 offset1:1
	;; [unrolled: 1-line block ×4, first 2 shown]
	v_add_nc_u32_e32 v103, 0x8a0, v111
	v_add_nc_u32_e32 v112, 0xcf8, v111
	;; [unrolled: 1-line block ×4, first 2 shown]
	ds_load_2addr_b32 v[105:106], v105 offset1:1
	ds_load_2addr_b32 v[107:108], v104 offset1:1
	;; [unrolled: 1-line block ×7, first 2 shown]
	ds_load_2addr_b32 v[125:126], v111 offset0:14 offset1:15
	ds_load_2addr_b32 v[123:124], v111 offset0:12 offset1:13
	;; [unrolled: 1-line block ×4, first 2 shown]
	v_add_nc_u32_e32 v111, 0xce0, v111
	s_waitcnt vmcnt(2) lgkmcnt(27)
	v_wmma_f32_16x16x16_f16 v[25:32], v[41:48], v[63:70], v[25:32]
	s_waitcnt lgkmcnt(23)
	v_wmma_f32_16x16x16_f16 v[17:24], v[41:48], v[71:78], v[17:24]
	s_waitcnt lgkmcnt(19)
	v_wmma_f32_16x16x16_f16 v[9:16], v[41:48], v[79:86], v[9:16]
	s_add_i32 s0, s13, 32
	ds_load_2addr_b32 v[111:112], v111 offset1:1
	s_waitcnt lgkmcnt(16)
	v_wmma_f32_16x16x16_f16 v[1:8], v[41:48], v[87:94], v[1:8]
	s_cmp_ge_i32 s13, s18
	s_waitcnt vmcnt(0) lgkmcnt(0)
	s_barrier
	buffer_gl0_inv
	v_wmma_f32_16x16x16_f16 v[17:24], v[33:40], v[95:102], v[17:24]
	v_wmma_f32_16x16x16_f16 v[9:16], v[33:40], v[103:110], v[9:16]
	;; [unrolled: 1-line block ×4, first 2 shown]
	s_cbranch_scc1 .LBB4_15
; %bb.14:                               ;   in Loop: Header=BB4_7 Depth=1
	s_mov_b32 s13, s0
	s_branch .LBB4_7
.LBB4_15:
	s_cmp_lt_u32 s20, 2
	s_mov_b32 s0, -1
	s_cselect_b32 s4, -1, 0
	s_delay_alu instid0(SALU_CYCLE_1)
	s_and_b32 vcc_lo, exec_lo, s4
	s_cbranch_vccnz .LBB4_23
; %bb.16:
	s_and_not1_b32 vcc_lo, exec_lo, s0
	s_cbranch_vccz .LBB4_41
.LBB4_17:
	s_or_b32 s0, s14, 16
	s_and_b32 vcc_lo, exec_lo, s4
	s_mov_b32 s1, -1
	s_cbranch_vccnz .LBB4_74
.LBB4_18:
	s_and_not1_b32 vcc_lo, exec_lo, s1
	s_cbranch_vccz .LBB4_92
.LBB4_19:
	s_or_b32 s0, s14, 32
	s_and_b32 vcc_lo, exec_lo, s4
	s_mov_b32 s1, -1
	s_cbranch_vccnz .LBB4_125
.LBB4_20:
	s_and_not1_b32 vcc_lo, exec_lo, s1
	s_cbranch_vccz .LBB4_143
.LBB4_21:
	s_or_b32 s0, s14, 48
	s_and_b32 vcc_lo, exec_lo, s4
	s_mov_b32 s1, -1
	s_cbranch_vccnz .LBB4_176
.LBB4_22:
	s_and_not1_b32 vcc_lo, exec_lo, s1
	s_cbranch_vccz .LBB4_194
	s_branch .LBB4_226
.LBB4_23:
	v_or_b32_e32 v33, s14, v53
	s_mov_b32 s0, exec_lo
	s_delay_alu instid0(VALU_DEP_1)
	v_cmpx_gt_i32_e64 s17, v33
	s_cbranch_execz .LBB4_40
; %bb.24:
	v_ashrrev_i32_e32 v34, 31, v33
	v_or_b32_e32 v35, v55, v54
	s_mov_b32 s1, exec_lo
	s_delay_alu instid0(VALU_DEP_2) | instskip(NEXT) | instid1(VALU_DEP_2)
	v_lshlrev_b64 v[33:34], 1, v[33:34]
	v_cmpx_gt_i32_e64 s16, v35
	s_cbranch_execz .LBB4_26
; %bb.25:
	v_mul_lo_u32 v36, v35, s17
	v_cvt_f16_f32_e32 v38, v25
	s_delay_alu instid0(VALU_DEP_2) | instskip(NEXT) | instid1(VALU_DEP_1)
	v_ashrrev_i32_e32 v37, 31, v36
	v_lshlrev_b64 v[36:37], 1, v[36:37]
	s_delay_alu instid0(VALU_DEP_1) | instskip(NEXT) | instid1(VALU_DEP_2)
	v_add_co_u32 v36, vcc_lo, s2, v36
	v_add_co_ci_u32_e32 v37, vcc_lo, s3, v37, vcc_lo
	s_delay_alu instid0(VALU_DEP_2) | instskip(NEXT) | instid1(VALU_DEP_2)
	v_add_co_u32 v36, vcc_lo, v36, v33
	v_add_co_ci_u32_e32 v37, vcc_lo, v37, v34, vcc_lo
	global_store_b16 v[36:37], v38, off
.LBB4_26:
	s_or_b32 exec_lo, exec_lo, s1
	v_or_b32_e32 v36, 2, v35
	s_mov_b32 s1, exec_lo
	s_delay_alu instid0(VALU_DEP_1)
	v_cmpx_gt_i32_e64 s16, v36
	s_cbranch_execz .LBB4_28
; %bb.27:
	v_mul_lo_u32 v36, v36, s17
	v_cvt_f16_f32_e32 v38, v26
	s_delay_alu instid0(VALU_DEP_2) | instskip(NEXT) | instid1(VALU_DEP_1)
	v_ashrrev_i32_e32 v37, 31, v36
	v_lshlrev_b64 v[36:37], 1, v[36:37]
	s_delay_alu instid0(VALU_DEP_1) | instskip(NEXT) | instid1(VALU_DEP_2)
	v_add_co_u32 v36, vcc_lo, s2, v36
	v_add_co_ci_u32_e32 v37, vcc_lo, s3, v37, vcc_lo
	s_delay_alu instid0(VALU_DEP_2) | instskip(NEXT) | instid1(VALU_DEP_2)
	v_add_co_u32 v36, vcc_lo, v36, v33
	v_add_co_ci_u32_e32 v37, vcc_lo, v37, v34, vcc_lo
	global_store_b16 v[36:37], v38, off
.LBB4_28:
	s_or_b32 exec_lo, exec_lo, s1
	v_or_b32_e32 v36, 4, v35
	s_mov_b32 s1, exec_lo
	s_delay_alu instid0(VALU_DEP_1)
	v_cmpx_gt_i32_e64 s16, v36
	s_cbranch_execz .LBB4_30
; %bb.29:
	v_mul_lo_u32 v36, v36, s17
	v_cvt_f16_f32_e32 v38, v27
	s_delay_alu instid0(VALU_DEP_2) | instskip(NEXT) | instid1(VALU_DEP_1)
	v_ashrrev_i32_e32 v37, 31, v36
	v_lshlrev_b64 v[36:37], 1, v[36:37]
	s_delay_alu instid0(VALU_DEP_1) | instskip(NEXT) | instid1(VALU_DEP_2)
	v_add_co_u32 v36, vcc_lo, s2, v36
	v_add_co_ci_u32_e32 v37, vcc_lo, s3, v37, vcc_lo
	s_delay_alu instid0(VALU_DEP_2) | instskip(NEXT) | instid1(VALU_DEP_2)
	v_add_co_u32 v36, vcc_lo, v36, v33
	v_add_co_ci_u32_e32 v37, vcc_lo, v37, v34, vcc_lo
	global_store_b16 v[36:37], v38, off
.LBB4_30:
	s_or_b32 exec_lo, exec_lo, s1
	v_or_b32_e32 v36, 6, v35
	s_mov_b32 s1, exec_lo
	s_delay_alu instid0(VALU_DEP_1)
	v_cmpx_gt_i32_e64 s16, v36
	s_cbranch_execz .LBB4_32
; %bb.31:
	v_mul_lo_u32 v36, v36, s17
	v_cvt_f16_f32_e32 v38, v28
	s_delay_alu instid0(VALU_DEP_2) | instskip(NEXT) | instid1(VALU_DEP_1)
	v_ashrrev_i32_e32 v37, 31, v36
	v_lshlrev_b64 v[36:37], 1, v[36:37]
	s_delay_alu instid0(VALU_DEP_1) | instskip(NEXT) | instid1(VALU_DEP_2)
	v_add_co_u32 v36, vcc_lo, s2, v36
	v_add_co_ci_u32_e32 v37, vcc_lo, s3, v37, vcc_lo
	s_delay_alu instid0(VALU_DEP_2) | instskip(NEXT) | instid1(VALU_DEP_2)
	v_add_co_u32 v36, vcc_lo, v36, v33
	v_add_co_ci_u32_e32 v37, vcc_lo, v37, v34, vcc_lo
	global_store_b16 v[36:37], v38, off
.LBB4_32:
	s_or_b32 exec_lo, exec_lo, s1
	v_or_b32_e32 v36, 8, v35
	s_mov_b32 s1, exec_lo
	s_delay_alu instid0(VALU_DEP_1)
	v_cmpx_gt_i32_e64 s16, v36
	s_cbranch_execz .LBB4_34
; %bb.33:
	v_mul_lo_u32 v36, v36, s17
	v_cvt_f16_f32_e32 v38, v29
	s_delay_alu instid0(VALU_DEP_2) | instskip(NEXT) | instid1(VALU_DEP_1)
	v_ashrrev_i32_e32 v37, 31, v36
	v_lshlrev_b64 v[36:37], 1, v[36:37]
	s_delay_alu instid0(VALU_DEP_1) | instskip(NEXT) | instid1(VALU_DEP_2)
	v_add_co_u32 v36, vcc_lo, s2, v36
	v_add_co_ci_u32_e32 v37, vcc_lo, s3, v37, vcc_lo
	s_delay_alu instid0(VALU_DEP_2) | instskip(NEXT) | instid1(VALU_DEP_2)
	v_add_co_u32 v36, vcc_lo, v36, v33
	v_add_co_ci_u32_e32 v37, vcc_lo, v37, v34, vcc_lo
	global_store_b16 v[36:37], v38, off
.LBB4_34:
	s_or_b32 exec_lo, exec_lo, s1
	v_or_b32_e32 v36, 10, v35
	s_mov_b32 s1, exec_lo
	s_delay_alu instid0(VALU_DEP_1)
	v_cmpx_gt_i32_e64 s16, v36
	s_cbranch_execz .LBB4_36
; %bb.35:
	v_mul_lo_u32 v36, v36, s17
	v_cvt_f16_f32_e32 v38, v30
	s_delay_alu instid0(VALU_DEP_2) | instskip(NEXT) | instid1(VALU_DEP_1)
	v_ashrrev_i32_e32 v37, 31, v36
	v_lshlrev_b64 v[36:37], 1, v[36:37]
	s_delay_alu instid0(VALU_DEP_1) | instskip(NEXT) | instid1(VALU_DEP_2)
	v_add_co_u32 v36, vcc_lo, s2, v36
	v_add_co_ci_u32_e32 v37, vcc_lo, s3, v37, vcc_lo
	s_delay_alu instid0(VALU_DEP_2) | instskip(NEXT) | instid1(VALU_DEP_2)
	v_add_co_u32 v36, vcc_lo, v36, v33
	v_add_co_ci_u32_e32 v37, vcc_lo, v37, v34, vcc_lo
	global_store_b16 v[36:37], v38, off
.LBB4_36:
	s_or_b32 exec_lo, exec_lo, s1
	v_or_b32_e32 v36, 12, v35
	s_mov_b32 s1, exec_lo
	s_delay_alu instid0(VALU_DEP_1)
	v_cmpx_gt_i32_e64 s16, v36
	s_cbranch_execz .LBB4_38
; %bb.37:
	v_mul_lo_u32 v36, v36, s17
	v_cvt_f16_f32_e32 v38, v31
	s_delay_alu instid0(VALU_DEP_2) | instskip(NEXT) | instid1(VALU_DEP_1)
	v_ashrrev_i32_e32 v37, 31, v36
	v_lshlrev_b64 v[36:37], 1, v[36:37]
	s_delay_alu instid0(VALU_DEP_1) | instskip(NEXT) | instid1(VALU_DEP_2)
	v_add_co_u32 v36, vcc_lo, s2, v36
	v_add_co_ci_u32_e32 v37, vcc_lo, s3, v37, vcc_lo
	s_delay_alu instid0(VALU_DEP_2) | instskip(NEXT) | instid1(VALU_DEP_2)
	v_add_co_u32 v36, vcc_lo, v36, v33
	v_add_co_ci_u32_e32 v37, vcc_lo, v37, v34, vcc_lo
	global_store_b16 v[36:37], v38, off
.LBB4_38:
	s_or_b32 exec_lo, exec_lo, s1
	v_or_b32_e32 v35, 14, v35
	s_delay_alu instid0(VALU_DEP_1)
	v_cmp_gt_i32_e32 vcc_lo, s16, v35
	s_and_b32 exec_lo, exec_lo, vcc_lo
	s_cbranch_execz .LBB4_40
; %bb.39:
	v_mul_lo_u32 v35, v35, s17
	s_delay_alu instid0(VALU_DEP_1) | instskip(NEXT) | instid1(VALU_DEP_1)
	v_ashrrev_i32_e32 v36, 31, v35
	v_lshlrev_b64 v[35:36], 1, v[35:36]
	s_delay_alu instid0(VALU_DEP_1) | instskip(NEXT) | instid1(VALU_DEP_2)
	v_add_co_u32 v35, vcc_lo, s2, v35
	v_add_co_ci_u32_e32 v36, vcc_lo, s3, v36, vcc_lo
	s_delay_alu instid0(VALU_DEP_2) | instskip(NEXT) | instid1(VALU_DEP_2)
	v_add_co_u32 v33, vcc_lo, v35, v33
	v_add_co_ci_u32_e32 v34, vcc_lo, v36, v34, vcc_lo
	v_cvt_f16_f32_e32 v35, v32
	global_store_b16 v[33:34], v35, off
.LBB4_40:
	s_or_b32 exec_lo, exec_lo, s0
	s_cbranch_execnz .LBB4_17
.LBB4_41:
	v_mbcnt_lo_u32_b32 v33, -1, 0
	s_delay_alu instid0(VALU_DEP_1) | instskip(NEXT) | instid1(VALU_DEP_1)
	v_xor_b32_e32 v34, 1, v33
	v_cmp_gt_i32_e32 vcc_lo, 32, v34
	v_dual_cndmask_b32 v33, v33, v34 :: v_dual_and_b32 v34, 1, v0
	s_delay_alu instid0(VALU_DEP_1) | instskip(SKIP_1) | instid1(VALU_DEP_3)
	v_lshlrev_b32_e32 v39, 2, v33
	v_or_b32_e32 v33, s14, v53
	v_cmp_eq_u32_e32 vcc_lo, 0, v34
	ds_bpermute_b32 v37, v39, v25
	v_ashrrev_i32_e32 v34, 31, v33
	s_and_saveexec_b32 s5, vcc_lo
	s_cbranch_execz .LBB4_45
; %bb.42:
	v_or_b32_e32 v35, v55, v54
	v_cmp_gt_i32_e64 s1, s17, v33
	s_delay_alu instid0(VALU_DEP_2) | instskip(NEXT) | instid1(VALU_DEP_1)
	v_cmp_gt_i32_e64 s0, s16, v35
	s_and_b32 s0, s0, s1
	s_delay_alu instid0(SALU_CYCLE_1)
	s_and_b32 exec_lo, exec_lo, s0
	s_cbranch_execz .LBB4_45
; %bb.43:
	v_mul_lo_u32 v35, v35, s17
	v_lshlrev_b64 v[40:41], 1, v[33:34]
	v_cvt_f16_f32_e32 v25, v25
	s_waitcnt lgkmcnt(0)
	v_cvt_f16_f32_e32 v37, v37
	s_mov_b32 s1, 0
	s_delay_alu instid0(VALU_DEP_1) | instskip(SKIP_1) | instid1(VALU_DEP_1)
	v_pack_b32_f16 v25, v25, v37
	v_ashrrev_i32_e32 v36, 31, v35
	v_lshlrev_b64 v[35:36], 1, v[35:36]
	s_delay_alu instid0(VALU_DEP_1) | instskip(NEXT) | instid1(VALU_DEP_1)
	v_add_co_u32 v35, s0, s2, v35
	v_add_co_ci_u32_e64 v36, s0, s3, v36, s0
	s_delay_alu instid0(VALU_DEP_2) | instskip(NEXT) | instid1(VALU_DEP_1)
	v_add_co_u32 v35, s0, v35, v40
	v_add_co_ci_u32_e64 v36, s0, v36, v41, s0
	global_load_b32 v38, v[35:36], off
.LBB4_44:                               ; =>This Inner Loop Header: Depth=1
	s_waitcnt vmcnt(0)
	v_pk_add_f16 v37, v25, v38
	global_atomic_cmpswap_b32 v37, v[35:36], v[37:38], off glc
	s_waitcnt vmcnt(0)
	v_cmp_eq_u32_e64 s0, v37, v38
	v_mov_b32_e32 v38, v37
	s_delay_alu instid0(VALU_DEP_2) | instskip(NEXT) | instid1(SALU_CYCLE_1)
	s_or_b32 s1, s0, s1
	s_and_not1_b32 exec_lo, exec_lo, s1
	s_cbranch_execnz .LBB4_44
.LBB4_45:
	s_or_b32 exec_lo, exec_lo, s5
	ds_bpermute_b32 v25, v39, v26
	s_and_saveexec_b32 s5, vcc_lo
	s_cbranch_execz .LBB4_49
; %bb.46:
	v_or3_b32 v35, v54, v55, 2
	v_cmp_gt_i32_e64 s1, s17, v33
	s_delay_alu instid0(VALU_DEP_2) | instskip(NEXT) | instid1(VALU_DEP_1)
	v_cmp_gt_i32_e64 s0, s16, v35
	s_and_b32 s0, s0, s1
	s_delay_alu instid0(SALU_CYCLE_1)
	s_and_b32 exec_lo, exec_lo, s0
	s_cbranch_execz .LBB4_49
; %bb.47:
	v_mul_lo_u32 v35, v35, s17
	s_waitcnt lgkmcnt(1)
	v_lshlrev_b64 v[37:38], 1, v[33:34]
	v_cvt_f16_f32_e32 v26, v26
	s_waitcnt lgkmcnt(0)
	v_cvt_f16_f32_e32 v25, v25
	s_mov_b32 s1, 0
	s_delay_alu instid0(VALU_DEP_1) | instskip(SKIP_1) | instid1(VALU_DEP_1)
	v_pack_b32_f16 v25, v26, v25
	v_ashrrev_i32_e32 v36, 31, v35
	v_lshlrev_b64 v[35:36], 1, v[35:36]
	s_delay_alu instid0(VALU_DEP_1) | instskip(NEXT) | instid1(VALU_DEP_1)
	v_add_co_u32 v35, s0, s2, v35
	v_add_co_ci_u32_e64 v36, s0, s3, v36, s0
	s_delay_alu instid0(VALU_DEP_2) | instskip(NEXT) | instid1(VALU_DEP_1)
	v_add_co_u32 v35, s0, v35, v37
	v_add_co_ci_u32_e64 v36, s0, v36, v38, s0
	global_load_b32 v38, v[35:36], off
.LBB4_48:                               ; =>This Inner Loop Header: Depth=1
	s_waitcnt vmcnt(0)
	v_pk_add_f16 v37, v25, v38
	global_atomic_cmpswap_b32 v26, v[35:36], v[37:38], off glc
	s_waitcnt vmcnt(0)
	v_cmp_eq_u32_e64 s0, v26, v38
	v_mov_b32_e32 v38, v26
	s_delay_alu instid0(VALU_DEP_2) | instskip(NEXT) | instid1(SALU_CYCLE_1)
	s_or_b32 s1, s0, s1
	s_and_not1_b32 exec_lo, exec_lo, s1
	s_cbranch_execnz .LBB4_48
.LBB4_49:
	s_or_b32 exec_lo, exec_lo, s5
	ds_bpermute_b32 v35, v39, v27
	s_and_saveexec_b32 s5, vcc_lo
	s_cbranch_execz .LBB4_53
; %bb.50:
	s_waitcnt lgkmcnt(1)
	v_or3_b32 v25, v54, v55, 4
	v_cmp_gt_i32_e64 s1, s17, v33
	s_delay_alu instid0(VALU_DEP_2) | instskip(NEXT) | instid1(VALU_DEP_1)
	v_cmp_gt_i32_e64 s0, s16, v25
	s_and_b32 s0, s0, s1
	s_delay_alu instid0(SALU_CYCLE_1)
	s_and_b32 exec_lo, exec_lo, s0
	s_cbranch_execz .LBB4_53
; %bb.51:
	v_mul_lo_u32 v25, v25, s17
	v_lshlrev_b64 v[36:37], 1, v[33:34]
	v_cvt_f16_f32_e32 v27, v27
	s_waitcnt lgkmcnt(0)
	v_cvt_f16_f32_e32 v35, v35
	s_mov_b32 s1, 0
	s_delay_alu instid0(VALU_DEP_1) | instskip(SKIP_1) | instid1(VALU_DEP_1)
	v_pack_b32_f16 v27, v27, v35
	v_ashrrev_i32_e32 v26, 31, v25
	v_lshlrev_b64 v[25:26], 1, v[25:26]
	s_delay_alu instid0(VALU_DEP_1) | instskip(NEXT) | instid1(VALU_DEP_1)
	v_add_co_u32 v25, s0, s2, v25
	v_add_co_ci_u32_e64 v26, s0, s3, v26, s0
	s_delay_alu instid0(VALU_DEP_2) | instskip(NEXT) | instid1(VALU_DEP_1)
	v_add_co_u32 v25, s0, v25, v36
	v_add_co_ci_u32_e64 v26, s0, v26, v37, s0
	global_load_b32 v36, v[25:26], off
.LBB4_52:                               ; =>This Inner Loop Header: Depth=1
	s_waitcnt vmcnt(0)
	v_pk_add_f16 v35, v27, v36
	global_atomic_cmpswap_b32 v35, v[25:26], v[35:36], off glc
	s_waitcnt vmcnt(0)
	v_cmp_eq_u32_e64 s0, v35, v36
	v_mov_b32_e32 v36, v35
	s_delay_alu instid0(VALU_DEP_2) | instskip(NEXT) | instid1(SALU_CYCLE_1)
	s_or_b32 s1, s0, s1
	s_and_not1_b32 exec_lo, exec_lo, s1
	s_cbranch_execnz .LBB4_52
.LBB4_53:
	s_or_b32 exec_lo, exec_lo, s5
	ds_bpermute_b32 v27, v39, v28
	s_and_saveexec_b32 s5, vcc_lo
	s_cbranch_execz .LBB4_57
; %bb.54:
	s_waitcnt lgkmcnt(2)
	v_or3_b32 v25, v54, v55, 6
	v_cmp_gt_i32_e64 s1, s17, v33
	s_delay_alu instid0(VALU_DEP_2) | instskip(NEXT) | instid1(VALU_DEP_1)
	v_cmp_gt_i32_e64 s0, s16, v25
	s_and_b32 s0, s0, s1
	s_delay_alu instid0(SALU_CYCLE_1)
	s_and_b32 exec_lo, exec_lo, s0
	s_cbranch_execz .LBB4_57
; %bb.55:
	v_mul_lo_u32 v25, v25, s17
	s_waitcnt lgkmcnt(1)
	v_lshlrev_b64 v[35:36], 1, v[33:34]
	v_cvt_f16_f32_e32 v28, v28
	s_waitcnt lgkmcnt(0)
	v_cvt_f16_f32_e32 v27, v27
	s_mov_b32 s1, 0
	s_delay_alu instid0(VALU_DEP_1) | instskip(SKIP_1) | instid1(VALU_DEP_1)
	v_pack_b32_f16 v27, v28, v27
	v_ashrrev_i32_e32 v26, 31, v25
	v_lshlrev_b64 v[25:26], 1, v[25:26]
	s_delay_alu instid0(VALU_DEP_1) | instskip(NEXT) | instid1(VALU_DEP_1)
	v_add_co_u32 v25, s0, s2, v25
	v_add_co_ci_u32_e64 v26, s0, s3, v26, s0
	s_delay_alu instid0(VALU_DEP_2) | instskip(NEXT) | instid1(VALU_DEP_1)
	v_add_co_u32 v25, s0, v25, v35
	v_add_co_ci_u32_e64 v26, s0, v26, v36, s0
	global_load_b32 v36, v[25:26], off
.LBB4_56:                               ; =>This Inner Loop Header: Depth=1
	s_waitcnt vmcnt(0)
	v_pk_add_f16 v35, v27, v36
	global_atomic_cmpswap_b32 v28, v[25:26], v[35:36], off glc
	s_waitcnt vmcnt(0)
	v_cmp_eq_u32_e64 s0, v28, v36
	v_mov_b32_e32 v36, v28
	s_delay_alu instid0(VALU_DEP_2) | instskip(NEXT) | instid1(SALU_CYCLE_1)
	s_or_b32 s1, s0, s1
	s_and_not1_b32 exec_lo, exec_lo, s1
	s_cbranch_execnz .LBB4_56
.LBB4_57:
	s_or_b32 exec_lo, exec_lo, s5
	s_waitcnt lgkmcnt(0)
	ds_bpermute_b32 v27, v39, v29
	s_and_saveexec_b32 s5, vcc_lo
	s_cbranch_execz .LBB4_61
; %bb.58:
	v_or3_b32 v25, v54, v55, 8
	v_cmp_gt_i32_e64 s1, s17, v33
	s_delay_alu instid0(VALU_DEP_2) | instskip(NEXT) | instid1(VALU_DEP_1)
	v_cmp_gt_i32_e64 s0, s16, v25
	s_and_b32 s0, s0, s1
	s_delay_alu instid0(SALU_CYCLE_1)
	s_and_b32 exec_lo, exec_lo, s0
	s_cbranch_execz .LBB4_61
; %bb.59:
	v_mul_lo_u32 v25, v25, s17
	v_lshlrev_b64 v[35:36], 1, v[33:34]
	v_cvt_f16_f32_e32 v29, v29
	s_waitcnt lgkmcnt(0)
	v_cvt_f16_f32_e32 v27, v27
	s_mov_b32 s1, 0
	s_delay_alu instid0(VALU_DEP_1) | instskip(SKIP_1) | instid1(VALU_DEP_1)
	v_pack_b32_f16 v29, v29, v27
	v_ashrrev_i32_e32 v26, 31, v25
	v_lshlrev_b64 v[25:26], 1, v[25:26]
	s_delay_alu instid0(VALU_DEP_1) | instskip(NEXT) | instid1(VALU_DEP_1)
	v_add_co_u32 v25, s0, s2, v25
	v_add_co_ci_u32_e64 v26, s0, s3, v26, s0
	s_delay_alu instid0(VALU_DEP_2) | instskip(NEXT) | instid1(VALU_DEP_1)
	v_add_co_u32 v25, s0, v25, v35
	v_add_co_ci_u32_e64 v26, s0, v26, v36, s0
	global_load_b32 v28, v[25:26], off
.LBB4_60:                               ; =>This Inner Loop Header: Depth=1
	s_waitcnt vmcnt(0)
	v_pk_add_f16 v27, v29, v28
	global_atomic_cmpswap_b32 v27, v[25:26], v[27:28], off glc
	s_waitcnt vmcnt(0)
	v_cmp_eq_u32_e64 s0, v27, v28
	v_mov_b32_e32 v28, v27
	s_delay_alu instid0(VALU_DEP_2) | instskip(NEXT) | instid1(SALU_CYCLE_1)
	s_or_b32 s1, s0, s1
	s_and_not1_b32 exec_lo, exec_lo, s1
	s_cbranch_execnz .LBB4_60
.LBB4_61:
	s_or_b32 exec_lo, exec_lo, s5
	s_waitcnt lgkmcnt(0)
	ds_bpermute_b32 v27, v39, v30
	s_and_saveexec_b32 s5, vcc_lo
	s_cbranch_execz .LBB4_65
; %bb.62:
	v_or3_b32 v25, v54, v55, 10
	v_cmp_gt_i32_e64 s1, s17, v33
	s_delay_alu instid0(VALU_DEP_2) | instskip(NEXT) | instid1(VALU_DEP_1)
	v_cmp_gt_i32_e64 s0, s16, v25
	s_and_b32 s0, s0, s1
	s_delay_alu instid0(SALU_CYCLE_1)
	s_and_b32 exec_lo, exec_lo, s0
	s_cbranch_execz .LBB4_65
; %bb.63:
	v_mul_lo_u32 v25, v25, s17
	v_lshlrev_b64 v[28:29], 1, v[33:34]
	s_waitcnt lgkmcnt(0)
	v_cvt_f16_f32_e32 v27, v27
	s_mov_b32 s1, 0
	s_delay_alu instid0(VALU_DEP_3) | instskip(NEXT) | instid1(VALU_DEP_1)
	v_ashrrev_i32_e32 v26, 31, v25
	v_lshlrev_b64 v[25:26], 1, v[25:26]
	s_delay_alu instid0(VALU_DEP_1) | instskip(NEXT) | instid1(VALU_DEP_1)
	v_add_co_u32 v25, s0, s2, v25
	v_add_co_ci_u32_e64 v26, s0, s3, v26, s0
	s_delay_alu instid0(VALU_DEP_2) | instskip(NEXT) | instid1(VALU_DEP_1)
	v_add_co_u32 v25, s0, v25, v28
	v_add_co_ci_u32_e64 v26, s0, v26, v29, s0
	v_cvt_f16_f32_e32 v29, v30
	global_load_b32 v28, v[25:26], off
	v_pack_b32_f16 v29, v29, v27
.LBB4_64:                               ; =>This Inner Loop Header: Depth=1
	s_waitcnt vmcnt(0)
	s_delay_alu instid0(VALU_DEP_1) | instskip(SKIP_4) | instid1(VALU_DEP_2)
	v_pk_add_f16 v27, v29, v28
	global_atomic_cmpswap_b32 v27, v[25:26], v[27:28], off glc
	s_waitcnt vmcnt(0)
	v_cmp_eq_u32_e64 s0, v27, v28
	v_mov_b32_e32 v28, v27
	s_or_b32 s1, s0, s1
	s_delay_alu instid0(SALU_CYCLE_1)
	s_and_not1_b32 exec_lo, exec_lo, s1
	s_cbranch_execnz .LBB4_64
.LBB4_65:
	s_or_b32 exec_lo, exec_lo, s5
	s_waitcnt lgkmcnt(0)
	ds_bpermute_b32 v27, v39, v31
	s_and_saveexec_b32 s5, vcc_lo
	s_cbranch_execz .LBB4_69
; %bb.66:
	v_or3_b32 v25, v54, v55, 12
	v_cmp_gt_i32_e64 s1, s17, v33
	s_delay_alu instid0(VALU_DEP_2) | instskip(NEXT) | instid1(VALU_DEP_1)
	v_cmp_gt_i32_e64 s0, s16, v25
	s_and_b32 s0, s0, s1
	s_delay_alu instid0(SALU_CYCLE_1)
	s_and_b32 exec_lo, exec_lo, s0
	s_cbranch_execz .LBB4_69
; %bb.67:
	v_mul_lo_u32 v25, v25, s17
	v_lshlrev_b64 v[28:29], 1, v[33:34]
	s_waitcnt lgkmcnt(0)
	v_cvt_f16_f32_e32 v27, v27
	s_mov_b32 s1, 0
	s_delay_alu instid0(VALU_DEP_3) | instskip(NEXT) | instid1(VALU_DEP_1)
	v_ashrrev_i32_e32 v26, 31, v25
	v_lshlrev_b64 v[25:26], 1, v[25:26]
	s_delay_alu instid0(VALU_DEP_1) | instskip(NEXT) | instid1(VALU_DEP_1)
	v_add_co_u32 v25, s0, s2, v25
	v_add_co_ci_u32_e64 v26, s0, s3, v26, s0
	s_delay_alu instid0(VALU_DEP_2) | instskip(NEXT) | instid1(VALU_DEP_1)
	v_add_co_u32 v25, s0, v25, v28
	v_add_co_ci_u32_e64 v26, s0, v26, v29, s0
	v_cvt_f16_f32_e32 v29, v31
	global_load_b32 v28, v[25:26], off
	v_pack_b32_f16 v29, v29, v27
.LBB4_68:                               ; =>This Inner Loop Header: Depth=1
	s_waitcnt vmcnt(0)
	s_delay_alu instid0(VALU_DEP_1) | instskip(SKIP_4) | instid1(VALU_DEP_2)
	v_pk_add_f16 v27, v29, v28
	global_atomic_cmpswap_b32 v27, v[25:26], v[27:28], off glc
	s_waitcnt vmcnt(0)
	v_cmp_eq_u32_e64 s0, v27, v28
	v_mov_b32_e32 v28, v27
	s_or_b32 s1, s0, s1
	s_delay_alu instid0(SALU_CYCLE_1)
	s_and_not1_b32 exec_lo, exec_lo, s1
	s_cbranch_execnz .LBB4_68
.LBB4_69:
	s_or_b32 exec_lo, exec_lo, s5
	s_waitcnt lgkmcnt(0)
	ds_bpermute_b32 v27, v39, v32
	s_and_saveexec_b32 s1, vcc_lo
	s_cbranch_execz .LBB4_73
; %bb.70:
	v_or3_b32 v25, v54, v55, 14
	v_cmp_gt_i32_e64 s0, s17, v33
	s_delay_alu instid0(VALU_DEP_2) | instskip(NEXT) | instid1(VALU_DEP_2)
	v_cmp_gt_i32_e32 vcc_lo, s16, v25
	s_and_b32 s0, vcc_lo, s0
	s_delay_alu instid0(SALU_CYCLE_1)
	s_and_b32 exec_lo, exec_lo, s0
	s_cbranch_execz .LBB4_73
; %bb.71:
	v_mul_lo_u32 v25, v25, s17
	v_lshlrev_b64 v[28:29], 1, v[33:34]
	s_waitcnt lgkmcnt(0)
	v_cvt_f16_f32_e32 v27, v27
	s_mov_b32 s0, 0
	s_delay_alu instid0(VALU_DEP_3) | instskip(NEXT) | instid1(VALU_DEP_1)
	v_ashrrev_i32_e32 v26, 31, v25
	v_lshlrev_b64 v[25:26], 1, v[25:26]
	s_delay_alu instid0(VALU_DEP_1) | instskip(NEXT) | instid1(VALU_DEP_2)
	v_add_co_u32 v25, vcc_lo, s2, v25
	v_add_co_ci_u32_e32 v26, vcc_lo, s3, v26, vcc_lo
	s_delay_alu instid0(VALU_DEP_2) | instskip(NEXT) | instid1(VALU_DEP_2)
	v_add_co_u32 v25, vcc_lo, v25, v28
	v_add_co_ci_u32_e32 v26, vcc_lo, v26, v29, vcc_lo
	v_cvt_f16_f32_e32 v29, v32
	global_load_b32 v28, v[25:26], off
	v_pack_b32_f16 v29, v29, v27
.LBB4_72:                               ; =>This Inner Loop Header: Depth=1
	s_waitcnt vmcnt(0)
	s_delay_alu instid0(VALU_DEP_1)
	v_pk_add_f16 v27, v29, v28
	global_atomic_cmpswap_b32 v27, v[25:26], v[27:28], off glc
	s_waitcnt vmcnt(0)
	v_cmp_eq_u32_e32 vcc_lo, v27, v28
	v_mov_b32_e32 v28, v27
	s_or_b32 s0, vcc_lo, s0
	s_delay_alu instid0(SALU_CYCLE_1)
	s_and_not1_b32 exec_lo, exec_lo, s0
	s_cbranch_execnz .LBB4_72
.LBB4_73:
	s_or_b32 exec_lo, exec_lo, s1
	s_or_b32 s0, s14, 16
	s_and_b32 vcc_lo, exec_lo, s4
	s_mov_b32 s1, -1
	s_cbranch_vccz .LBB4_18
.LBB4_74:
	v_or_b32_e32 v25, s0, v53
	s_mov_b32 s1, exec_lo
	s_delay_alu instid0(VALU_DEP_1)
	v_cmpx_gt_i32_e64 s17, v25
	s_cbranch_execz .LBB4_91
; %bb.75:
	v_or_b32_e32 v25, v55, v54
	s_mov_b32 s5, exec_lo
	s_delay_alu instid0(VALU_DEP_1)
	v_cmpx_gt_i32_e64 s16, v25
	s_cbranch_execz .LBB4_77
; %bb.76:
	v_mul_lo_u32 v26, v25, s17
	s_ashr_i32 s6, s14, 31
	v_add_co_u32 v28, s7, s14, v53
	s_delay_alu instid0(VALU_DEP_1) | instskip(SKIP_1) | instid1(VALU_DEP_3)
	v_add_co_ci_u32_e64 v29, null, s6, 0, s7
	s_waitcnt lgkmcnt(0)
	v_ashrrev_i32_e32 v27, 31, v26
	s_delay_alu instid0(VALU_DEP_2) | instskip(NEXT) | instid1(VALU_DEP_2)
	v_lshlrev_b64 v[28:29], 1, v[28:29]
	v_lshlrev_b64 v[26:27], 1, v[26:27]
	s_delay_alu instid0(VALU_DEP_1) | instskip(NEXT) | instid1(VALU_DEP_2)
	v_add_co_u32 v26, vcc_lo, s2, v26
	v_add_co_ci_u32_e32 v27, vcc_lo, s3, v27, vcc_lo
	s_delay_alu instid0(VALU_DEP_2) | instskip(NEXT) | instid1(VALU_DEP_2)
	v_add_co_u32 v26, vcc_lo, v26, v28
	v_add_co_ci_u32_e32 v27, vcc_lo, v27, v29, vcc_lo
	v_cvt_f16_f32_e32 v28, v17
	global_store_b16 v[26:27], v28, off offset:32
.LBB4_77:
	s_or_b32 exec_lo, exec_lo, s5
	v_or_b32_e32 v26, 2, v25
	s_mov_b32 s5, exec_lo
	s_delay_alu instid0(VALU_DEP_1)
	v_cmpx_gt_i32_e64 s16, v26
	s_cbranch_execz .LBB4_79
; %bb.78:
	v_mul_lo_u32 v26, v26, s17
	s_ashr_i32 s6, s14, 31
	v_add_co_u32 v28, s7, s14, v53
	s_delay_alu instid0(VALU_DEP_1) | instskip(SKIP_1) | instid1(VALU_DEP_3)
	v_add_co_ci_u32_e64 v29, null, s6, 0, s7
	s_waitcnt lgkmcnt(0)
	v_ashrrev_i32_e32 v27, 31, v26
	s_delay_alu instid0(VALU_DEP_2) | instskip(NEXT) | instid1(VALU_DEP_2)
	v_lshlrev_b64 v[28:29], 1, v[28:29]
	v_lshlrev_b64 v[26:27], 1, v[26:27]
	s_delay_alu instid0(VALU_DEP_1) | instskip(NEXT) | instid1(VALU_DEP_2)
	v_add_co_u32 v26, vcc_lo, s2, v26
	v_add_co_ci_u32_e32 v27, vcc_lo, s3, v27, vcc_lo
	s_delay_alu instid0(VALU_DEP_2) | instskip(NEXT) | instid1(VALU_DEP_2)
	v_add_co_u32 v26, vcc_lo, v26, v28
	v_add_co_ci_u32_e32 v27, vcc_lo, v27, v29, vcc_lo
	v_cvt_f16_f32_e32 v28, v18
	global_store_b16 v[26:27], v28, off offset:32
.LBB4_79:
	s_or_b32 exec_lo, exec_lo, s5
	;; [unrolled: 26-line block ×7, first 2 shown]
	v_or_b32_e32 v25, 14, v25
	s_delay_alu instid0(VALU_DEP_1)
	v_cmp_gt_i32_e32 vcc_lo, s16, v25
	s_and_b32 exec_lo, exec_lo, vcc_lo
	s_cbranch_execz .LBB4_91
; %bb.90:
	v_mul_lo_u32 v25, v25, s17
	s_ashr_i32 s5, s14, 31
	s_waitcnt lgkmcnt(0)
	v_add_co_u32 v27, s6, s14, v53
	s_delay_alu instid0(VALU_DEP_1) | instskip(NEXT) | instid1(VALU_DEP_3)
	v_add_co_ci_u32_e64 v28, null, s5, 0, s6
	v_ashrrev_i32_e32 v26, 31, v25
	s_delay_alu instid0(VALU_DEP_2) | instskip(NEXT) | instid1(VALU_DEP_2)
	v_lshlrev_b64 v[27:28], 1, v[27:28]
	v_lshlrev_b64 v[25:26], 1, v[25:26]
	s_delay_alu instid0(VALU_DEP_1) | instskip(NEXT) | instid1(VALU_DEP_2)
	v_add_co_u32 v25, vcc_lo, s2, v25
	v_add_co_ci_u32_e32 v26, vcc_lo, s3, v26, vcc_lo
	s_delay_alu instid0(VALU_DEP_2) | instskip(NEXT) | instid1(VALU_DEP_2)
	v_add_co_u32 v25, vcc_lo, v25, v27
	v_add_co_ci_u32_e32 v26, vcc_lo, v26, v28, vcc_lo
	v_cvt_f16_f32_e32 v27, v24
	global_store_b16 v[25:26], v27, off offset:32
.LBB4_91:
	s_or_b32 exec_lo, exec_lo, s1
	s_cbranch_execnz .LBB4_19
.LBB4_92:
	v_mbcnt_lo_u32_b32 v25, -1, 0
	v_or_b32_e32 v29, s0, v53
	s_delay_alu instid0(VALU_DEP_2) | instskip(NEXT) | instid1(VALU_DEP_1)
	v_xor_b32_e32 v26, 1, v25
	v_cmp_gt_i32_e32 vcc_lo, 32, v26
	v_cndmask_b32_e32 v25, v25, v26, vcc_lo
	s_delay_alu instid0(VALU_DEP_1)
	v_lshlrev_b32_e32 v30, 2, v25
	v_and_b32_e32 v25, 1, v0
	s_waitcnt lgkmcnt(0)
	ds_bpermute_b32 v27, v30, v17
	v_cmp_eq_u32_e32 vcc_lo, 0, v25
	s_and_saveexec_b32 s5, vcc_lo
	s_cbranch_execz .LBB4_96
; %bb.93:
	v_or_b32_e32 v25, v55, v54
	v_cmp_gt_i32_e64 s1, s17, v29
	s_delay_alu instid0(VALU_DEP_2) | instskip(NEXT) | instid1(VALU_DEP_1)
	v_cmp_gt_i32_e64 s0, s16, v25
	s_and_b32 s0, s0, s1
	s_delay_alu instid0(SALU_CYCLE_1)
	s_and_b32 exec_lo, exec_lo, s0
	s_cbranch_execz .LBB4_96
; %bb.94:
	v_mul_lo_u32 v25, v25, s17
	s_ashr_i32 s0, s14, 31
	v_add_co_u32 v31, s1, s14, v53
	s_delay_alu instid0(VALU_DEP_1)
	v_add_co_ci_u32_e64 v32, null, s0, 0, s1
	v_cvt_f16_f32_e32 v17, v17
	s_waitcnt lgkmcnt(0)
	v_cvt_f16_f32_e32 v27, v27
	v_ashrrev_i32_e32 v26, 31, v25
	v_lshlrev_b64 v[31:32], 1, v[31:32]
	s_mov_b32 s1, 0
	s_delay_alu instid0(VALU_DEP_3) | instskip(NEXT) | instid1(VALU_DEP_3)
	v_pack_b32_f16 v17, v17, v27
	v_lshlrev_b64 v[25:26], 1, v[25:26]
	s_delay_alu instid0(VALU_DEP_1) | instskip(NEXT) | instid1(VALU_DEP_1)
	v_add_co_u32 v25, s0, s2, v25
	v_add_co_ci_u32_e64 v26, s0, s3, v26, s0
	s_delay_alu instid0(VALU_DEP_2) | instskip(NEXT) | instid1(VALU_DEP_1)
	v_add_co_u32 v25, s0, v25, v31
	v_add_co_ci_u32_e64 v26, s0, v26, v32, s0
	global_load_b32 v28, v[25:26], off offset:32
.LBB4_95:                               ; =>This Inner Loop Header: Depth=1
	s_waitcnt vmcnt(0)
	v_pk_add_f16 v27, v17, v28
	global_atomic_cmpswap_b32 v27, v[25:26], v[27:28], off offset:32 glc
	s_waitcnt vmcnt(0)
	v_cmp_eq_u32_e64 s0, v27, v28
	v_mov_b32_e32 v28, v27
	s_delay_alu instid0(VALU_DEP_2) | instskip(NEXT) | instid1(SALU_CYCLE_1)
	s_or_b32 s1, s0, s1
	s_and_not1_b32 exec_lo, exec_lo, s1
	s_cbranch_execnz .LBB4_95
.LBB4_96:
	s_or_b32 exec_lo, exec_lo, s5
	ds_bpermute_b32 v17, v30, v18
	s_and_saveexec_b32 s5, vcc_lo
	s_cbranch_execz .LBB4_100
; %bb.97:
	v_or3_b32 v25, v54, v55, 2
	v_cmp_gt_i32_e64 s1, s17, v29
	s_delay_alu instid0(VALU_DEP_2) | instskip(NEXT) | instid1(VALU_DEP_1)
	v_cmp_gt_i32_e64 s0, s16, v25
	s_and_b32 s0, s0, s1
	s_delay_alu instid0(SALU_CYCLE_1)
	s_and_b32 exec_lo, exec_lo, s0
	s_cbranch_execz .LBB4_100
; %bb.98:
	v_mul_lo_u32 v25, v25, s17
	s_ashr_i32 s0, s14, 31
	s_waitcnt lgkmcnt(1)
	v_add_co_u32 v27, s1, s14, v53
	s_delay_alu instid0(VALU_DEP_1)
	v_add_co_ci_u32_e64 v28, null, s0, 0, s1
	v_cvt_f16_f32_e32 v18, v18
	s_waitcnt lgkmcnt(0)
	v_cvt_f16_f32_e32 v17, v17
	v_ashrrev_i32_e32 v26, 31, v25
	v_lshlrev_b64 v[27:28], 1, v[27:28]
	s_mov_b32 s1, 0
	s_delay_alu instid0(VALU_DEP_3) | instskip(NEXT) | instid1(VALU_DEP_3)
	v_pack_b32_f16 v17, v18, v17
	v_lshlrev_b64 v[25:26], 1, v[25:26]
	s_delay_alu instid0(VALU_DEP_1) | instskip(NEXT) | instid1(VALU_DEP_1)
	v_add_co_u32 v25, s0, s2, v25
	v_add_co_ci_u32_e64 v26, s0, s3, v26, s0
	s_delay_alu instid0(VALU_DEP_2) | instskip(NEXT) | instid1(VALU_DEP_1)
	v_add_co_u32 v25, s0, v25, v27
	v_add_co_ci_u32_e64 v26, s0, v26, v28, s0
	global_load_b32 v28, v[25:26], off offset:32
.LBB4_99:                               ; =>This Inner Loop Header: Depth=1
	s_waitcnt vmcnt(0)
	v_pk_add_f16 v27, v17, v28
	global_atomic_cmpswap_b32 v18, v[25:26], v[27:28], off offset:32 glc
	s_waitcnt vmcnt(0)
	v_cmp_eq_u32_e64 s0, v18, v28
	v_mov_b32_e32 v28, v18
	s_delay_alu instid0(VALU_DEP_2) | instskip(NEXT) | instid1(SALU_CYCLE_1)
	s_or_b32 s1, s0, s1
	s_and_not1_b32 exec_lo, exec_lo, s1
	s_cbranch_execnz .LBB4_99
.LBB4_100:
	s_or_b32 exec_lo, exec_lo, s5
	ds_bpermute_b32 v25, v30, v19
	s_and_saveexec_b32 s5, vcc_lo
	s_cbranch_execz .LBB4_104
; %bb.101:
	s_waitcnt lgkmcnt(1)
	v_or3_b32 v17, v54, v55, 4
	v_cmp_gt_i32_e64 s1, s17, v29
	s_delay_alu instid0(VALU_DEP_2) | instskip(NEXT) | instid1(VALU_DEP_1)
	v_cmp_gt_i32_e64 s0, s16, v17
	s_and_b32 s0, s0, s1
	s_delay_alu instid0(SALU_CYCLE_1)
	s_and_b32 exec_lo, exec_lo, s0
	s_cbranch_execz .LBB4_104
; %bb.102:
	v_mul_lo_u32 v17, v17, s17
	s_ashr_i32 s0, s14, 31
	v_add_co_u32 v26, s1, s14, v53
	s_delay_alu instid0(VALU_DEP_1)
	v_add_co_ci_u32_e64 v27, null, s0, 0, s1
	v_cvt_f16_f32_e32 v19, v19
	s_waitcnt lgkmcnt(0)
	v_cvt_f16_f32_e32 v25, v25
	v_ashrrev_i32_e32 v18, 31, v17
	v_lshlrev_b64 v[26:27], 1, v[26:27]
	s_mov_b32 s1, 0
	s_delay_alu instid0(VALU_DEP_3) | instskip(NEXT) | instid1(VALU_DEP_3)
	v_pack_b32_f16 v19, v19, v25
	v_lshlrev_b64 v[17:18], 1, v[17:18]
	s_delay_alu instid0(VALU_DEP_1) | instskip(NEXT) | instid1(VALU_DEP_1)
	v_add_co_u32 v17, s0, s2, v17
	v_add_co_ci_u32_e64 v18, s0, s3, v18, s0
	s_delay_alu instid0(VALU_DEP_2) | instskip(NEXT) | instid1(VALU_DEP_1)
	v_add_co_u32 v17, s0, v17, v26
	v_add_co_ci_u32_e64 v18, s0, v18, v27, s0
	global_load_b32 v26, v[17:18], off offset:32
.LBB4_103:                              ; =>This Inner Loop Header: Depth=1
	s_waitcnt vmcnt(0)
	v_pk_add_f16 v25, v19, v26
	global_atomic_cmpswap_b32 v25, v[17:18], v[25:26], off offset:32 glc
	s_waitcnt vmcnt(0)
	v_cmp_eq_u32_e64 s0, v25, v26
	v_mov_b32_e32 v26, v25
	s_delay_alu instid0(VALU_DEP_2) | instskip(NEXT) | instid1(SALU_CYCLE_1)
	s_or_b32 s1, s0, s1
	s_and_not1_b32 exec_lo, exec_lo, s1
	s_cbranch_execnz .LBB4_103
.LBB4_104:
	s_or_b32 exec_lo, exec_lo, s5
	ds_bpermute_b32 v19, v30, v20
	s_and_saveexec_b32 s5, vcc_lo
	s_cbranch_execz .LBB4_108
; %bb.105:
	s_waitcnt lgkmcnt(2)
	v_or3_b32 v17, v54, v55, 6
	v_cmp_gt_i32_e64 s1, s17, v29
	s_delay_alu instid0(VALU_DEP_2) | instskip(NEXT) | instid1(VALU_DEP_1)
	v_cmp_gt_i32_e64 s0, s16, v17
	s_and_b32 s0, s0, s1
	s_delay_alu instid0(SALU_CYCLE_1)
	s_and_b32 exec_lo, exec_lo, s0
	s_cbranch_execz .LBB4_108
; %bb.106:
	v_mul_lo_u32 v17, v17, s17
	s_ashr_i32 s0, s14, 31
	s_waitcnt lgkmcnt(1)
	v_add_co_u32 v25, s1, s14, v53
	s_delay_alu instid0(VALU_DEP_1)
	v_add_co_ci_u32_e64 v26, null, s0, 0, s1
	v_cvt_f16_f32_e32 v20, v20
	s_waitcnt lgkmcnt(0)
	v_cvt_f16_f32_e32 v19, v19
	v_ashrrev_i32_e32 v18, 31, v17
	v_lshlrev_b64 v[25:26], 1, v[25:26]
	s_mov_b32 s1, 0
	s_delay_alu instid0(VALU_DEP_3) | instskip(NEXT) | instid1(VALU_DEP_3)
	v_pack_b32_f16 v19, v20, v19
	v_lshlrev_b64 v[17:18], 1, v[17:18]
	s_delay_alu instid0(VALU_DEP_1) | instskip(NEXT) | instid1(VALU_DEP_1)
	v_add_co_u32 v17, s0, s2, v17
	v_add_co_ci_u32_e64 v18, s0, s3, v18, s0
	s_delay_alu instid0(VALU_DEP_2) | instskip(NEXT) | instid1(VALU_DEP_1)
	v_add_co_u32 v17, s0, v17, v25
	v_add_co_ci_u32_e64 v18, s0, v18, v26, s0
	global_load_b32 v26, v[17:18], off offset:32
.LBB4_107:                              ; =>This Inner Loop Header: Depth=1
	s_waitcnt vmcnt(0)
	v_pk_add_f16 v25, v19, v26
	global_atomic_cmpswap_b32 v20, v[17:18], v[25:26], off offset:32 glc
	s_waitcnt vmcnt(0)
	v_cmp_eq_u32_e64 s0, v20, v26
	v_mov_b32_e32 v26, v20
	s_delay_alu instid0(VALU_DEP_2) | instskip(NEXT) | instid1(SALU_CYCLE_1)
	s_or_b32 s1, s0, s1
	s_and_not1_b32 exec_lo, exec_lo, s1
	s_cbranch_execnz .LBB4_107
.LBB4_108:
	s_or_b32 exec_lo, exec_lo, s5
	s_waitcnt lgkmcnt(0)
	ds_bpermute_b32 v19, v30, v21
	s_and_saveexec_b32 s5, vcc_lo
	s_cbranch_execz .LBB4_112
; %bb.109:
	v_or3_b32 v17, v54, v55, 8
	v_cmp_gt_i32_e64 s1, s17, v29
	s_delay_alu instid0(VALU_DEP_2) | instskip(NEXT) | instid1(VALU_DEP_1)
	v_cmp_gt_i32_e64 s0, s16, v17
	s_and_b32 s0, s0, s1
	s_delay_alu instid0(SALU_CYCLE_1)
	s_and_b32 exec_lo, exec_lo, s0
	s_cbranch_execz .LBB4_112
; %bb.110:
	v_mul_lo_u32 v17, v17, s17
	s_ashr_i32 s0, s14, 31
	v_add_co_u32 v25, s1, s14, v53
	s_delay_alu instid0(VALU_DEP_1)
	v_add_co_ci_u32_e64 v26, null, s0, 0, s1
	v_cvt_f16_f32_e32 v21, v21
	s_waitcnt lgkmcnt(0)
	v_cvt_f16_f32_e32 v19, v19
	v_ashrrev_i32_e32 v18, 31, v17
	v_lshlrev_b64 v[25:26], 1, v[25:26]
	s_mov_b32 s1, 0
	s_delay_alu instid0(VALU_DEP_3) | instskip(NEXT) | instid1(VALU_DEP_3)
	v_pack_b32_f16 v21, v21, v19
	v_lshlrev_b64 v[17:18], 1, v[17:18]
	s_delay_alu instid0(VALU_DEP_1) | instskip(NEXT) | instid1(VALU_DEP_1)
	v_add_co_u32 v17, s0, s2, v17
	v_add_co_ci_u32_e64 v18, s0, s3, v18, s0
	s_delay_alu instid0(VALU_DEP_2) | instskip(NEXT) | instid1(VALU_DEP_1)
	v_add_co_u32 v17, s0, v17, v25
	v_add_co_ci_u32_e64 v18, s0, v18, v26, s0
	global_load_b32 v20, v[17:18], off offset:32
.LBB4_111:                              ; =>This Inner Loop Header: Depth=1
	s_waitcnt vmcnt(0)
	v_pk_add_f16 v19, v21, v20
	global_atomic_cmpswap_b32 v19, v[17:18], v[19:20], off offset:32 glc
	s_waitcnt vmcnt(0)
	v_cmp_eq_u32_e64 s0, v19, v20
	v_mov_b32_e32 v20, v19
	s_delay_alu instid0(VALU_DEP_2) | instskip(NEXT) | instid1(SALU_CYCLE_1)
	s_or_b32 s1, s0, s1
	s_and_not1_b32 exec_lo, exec_lo, s1
	s_cbranch_execnz .LBB4_111
.LBB4_112:
	s_or_b32 exec_lo, exec_lo, s5
	s_waitcnt lgkmcnt(0)
	ds_bpermute_b32 v19, v30, v22
	s_and_saveexec_b32 s5, vcc_lo
	s_cbranch_execz .LBB4_116
; %bb.113:
	v_or3_b32 v17, v54, v55, 10
	v_cmp_gt_i32_e64 s1, s17, v29
	s_delay_alu instid0(VALU_DEP_2) | instskip(NEXT) | instid1(VALU_DEP_1)
	v_cmp_gt_i32_e64 s0, s16, v17
	s_and_b32 s0, s0, s1
	s_delay_alu instid0(SALU_CYCLE_1)
	s_and_b32 exec_lo, exec_lo, s0
	s_cbranch_execz .LBB4_116
; %bb.114:
	v_mul_lo_u32 v17, v17, s17
	s_ashr_i32 s0, s14, 31
	v_add_co_u32 v20, s1, s14, v53
	s_delay_alu instid0(VALU_DEP_1) | instskip(SKIP_3) | instid1(VALU_DEP_4)
	v_add_co_ci_u32_e64 v21, null, s0, 0, s1
	s_waitcnt lgkmcnt(0)
	v_cvt_f16_f32_e32 v19, v19
	s_mov_b32 s1, 0
	v_ashrrev_i32_e32 v18, 31, v17
	v_lshlrev_b64 v[20:21], 1, v[20:21]
	s_delay_alu instid0(VALU_DEP_2) | instskip(NEXT) | instid1(VALU_DEP_1)
	v_lshlrev_b64 v[17:18], 1, v[17:18]
	v_add_co_u32 v17, s0, s2, v17
	s_delay_alu instid0(VALU_DEP_1) | instskip(NEXT) | instid1(VALU_DEP_2)
	v_add_co_ci_u32_e64 v18, s0, s3, v18, s0
	v_add_co_u32 v17, s0, v17, v20
	s_delay_alu instid0(VALU_DEP_1)
	v_add_co_ci_u32_e64 v18, s0, v18, v21, s0
	v_cvt_f16_f32_e32 v21, v22
	global_load_b32 v20, v[17:18], off offset:32
	v_pack_b32_f16 v21, v21, v19
.LBB4_115:                              ; =>This Inner Loop Header: Depth=1
	s_waitcnt vmcnt(0)
	s_delay_alu instid0(VALU_DEP_1) | instskip(SKIP_4) | instid1(VALU_DEP_2)
	v_pk_add_f16 v19, v21, v20
	global_atomic_cmpswap_b32 v19, v[17:18], v[19:20], off offset:32 glc
	s_waitcnt vmcnt(0)
	v_cmp_eq_u32_e64 s0, v19, v20
	v_mov_b32_e32 v20, v19
	s_or_b32 s1, s0, s1
	s_delay_alu instid0(SALU_CYCLE_1)
	s_and_not1_b32 exec_lo, exec_lo, s1
	s_cbranch_execnz .LBB4_115
.LBB4_116:
	s_or_b32 exec_lo, exec_lo, s5
	s_waitcnt lgkmcnt(0)
	ds_bpermute_b32 v19, v30, v23
	s_and_saveexec_b32 s5, vcc_lo
	s_cbranch_execz .LBB4_120
; %bb.117:
	v_or3_b32 v17, v54, v55, 12
	v_cmp_gt_i32_e64 s1, s17, v29
	s_delay_alu instid0(VALU_DEP_2) | instskip(NEXT) | instid1(VALU_DEP_1)
	v_cmp_gt_i32_e64 s0, s16, v17
	s_and_b32 s0, s0, s1
	s_delay_alu instid0(SALU_CYCLE_1)
	s_and_b32 exec_lo, exec_lo, s0
	s_cbranch_execz .LBB4_120
; %bb.118:
	v_mul_lo_u32 v17, v17, s17
	s_ashr_i32 s0, s14, 31
	v_add_co_u32 v20, s1, s14, v53
	s_delay_alu instid0(VALU_DEP_1) | instskip(SKIP_3) | instid1(VALU_DEP_4)
	v_add_co_ci_u32_e64 v21, null, s0, 0, s1
	s_waitcnt lgkmcnt(0)
	v_cvt_f16_f32_e32 v19, v19
	s_mov_b32 s1, 0
	v_ashrrev_i32_e32 v18, 31, v17
	v_lshlrev_b64 v[20:21], 1, v[20:21]
	s_delay_alu instid0(VALU_DEP_2) | instskip(NEXT) | instid1(VALU_DEP_1)
	v_lshlrev_b64 v[17:18], 1, v[17:18]
	v_add_co_u32 v17, s0, s2, v17
	s_delay_alu instid0(VALU_DEP_1) | instskip(NEXT) | instid1(VALU_DEP_2)
	v_add_co_ci_u32_e64 v18, s0, s3, v18, s0
	v_add_co_u32 v17, s0, v17, v20
	s_delay_alu instid0(VALU_DEP_1)
	v_add_co_ci_u32_e64 v18, s0, v18, v21, s0
	v_cvt_f16_f32_e32 v21, v23
	global_load_b32 v20, v[17:18], off offset:32
	v_pack_b32_f16 v21, v21, v19
.LBB4_119:                              ; =>This Inner Loop Header: Depth=1
	s_waitcnt vmcnt(0)
	s_delay_alu instid0(VALU_DEP_1) | instskip(SKIP_4) | instid1(VALU_DEP_2)
	v_pk_add_f16 v19, v21, v20
	global_atomic_cmpswap_b32 v19, v[17:18], v[19:20], off offset:32 glc
	s_waitcnt vmcnt(0)
	v_cmp_eq_u32_e64 s0, v19, v20
	v_mov_b32_e32 v20, v19
	s_or_b32 s1, s0, s1
	s_delay_alu instid0(SALU_CYCLE_1)
	s_and_not1_b32 exec_lo, exec_lo, s1
	s_cbranch_execnz .LBB4_119
.LBB4_120:
	s_or_b32 exec_lo, exec_lo, s5
	s_waitcnt lgkmcnt(0)
	ds_bpermute_b32 v19, v30, v24
	s_and_saveexec_b32 s1, vcc_lo
	s_cbranch_execz .LBB4_124
; %bb.121:
	v_or3_b32 v17, v54, v55, 14
	v_cmp_gt_i32_e64 s0, s17, v29
	s_delay_alu instid0(VALU_DEP_2) | instskip(NEXT) | instid1(VALU_DEP_2)
	v_cmp_gt_i32_e32 vcc_lo, s16, v17
	s_and_b32 s0, vcc_lo, s0
	s_delay_alu instid0(SALU_CYCLE_1)
	s_and_b32 exec_lo, exec_lo, s0
	s_cbranch_execz .LBB4_124
; %bb.122:
	v_mul_lo_u32 v17, v17, s17
	s_ashr_i32 s0, s14, 31
	v_add_co_u32 v20, s5, s14, v53
	s_delay_alu instid0(VALU_DEP_1) | instskip(SKIP_3) | instid1(VALU_DEP_4)
	v_add_co_ci_u32_e64 v21, null, s0, 0, s5
	s_waitcnt lgkmcnt(0)
	v_cvt_f16_f32_e32 v19, v19
	s_mov_b32 s0, 0
	v_ashrrev_i32_e32 v18, 31, v17
	v_lshlrev_b64 v[20:21], 1, v[20:21]
	s_delay_alu instid0(VALU_DEP_2) | instskip(NEXT) | instid1(VALU_DEP_1)
	v_lshlrev_b64 v[17:18], 1, v[17:18]
	v_add_co_u32 v17, vcc_lo, s2, v17
	s_delay_alu instid0(VALU_DEP_2) | instskip(NEXT) | instid1(VALU_DEP_2)
	v_add_co_ci_u32_e32 v18, vcc_lo, s3, v18, vcc_lo
	v_add_co_u32 v17, vcc_lo, v17, v20
	s_delay_alu instid0(VALU_DEP_2)
	v_add_co_ci_u32_e32 v18, vcc_lo, v18, v21, vcc_lo
	v_cvt_f16_f32_e32 v21, v24
	global_load_b32 v20, v[17:18], off offset:32
	v_pack_b32_f16 v21, v21, v19
.LBB4_123:                              ; =>This Inner Loop Header: Depth=1
	s_waitcnt vmcnt(0)
	s_delay_alu instid0(VALU_DEP_1)
	v_pk_add_f16 v19, v21, v20
	global_atomic_cmpswap_b32 v19, v[17:18], v[19:20], off offset:32 glc
	s_waitcnt vmcnt(0)
	v_cmp_eq_u32_e32 vcc_lo, v19, v20
	v_mov_b32_e32 v20, v19
	s_or_b32 s0, vcc_lo, s0
	s_delay_alu instid0(SALU_CYCLE_1)
	s_and_not1_b32 exec_lo, exec_lo, s0
	s_cbranch_execnz .LBB4_123
.LBB4_124:
	s_or_b32 exec_lo, exec_lo, s1
	s_or_b32 s0, s14, 32
	s_and_b32 vcc_lo, exec_lo, s4
	s_mov_b32 s1, -1
	s_cbranch_vccz .LBB4_20
.LBB4_125:
	v_or_b32_e32 v17, s0, v53
	s_mov_b32 s1, exec_lo
	s_delay_alu instid0(VALU_DEP_1)
	v_cmpx_gt_i32_e64 s17, v17
	s_cbranch_execz .LBB4_142
; %bb.126:
	v_or_b32_e32 v17, v55, v54
	s_mov_b32 s5, exec_lo
	s_delay_alu instid0(VALU_DEP_1)
	v_cmpx_gt_i32_e64 s16, v17
	s_cbranch_execz .LBB4_128
; %bb.127:
	v_mul_lo_u32 v18, v17, s17
	s_ashr_i32 s6, s14, 31
	v_add_co_u32 v20, s7, s14, v53
	s_delay_alu instid0(VALU_DEP_1) | instskip(SKIP_1) | instid1(VALU_DEP_3)
	v_add_co_ci_u32_e64 v21, null, s6, 0, s7
	s_waitcnt lgkmcnt(0)
	v_ashrrev_i32_e32 v19, 31, v18
	s_delay_alu instid0(VALU_DEP_2) | instskip(NEXT) | instid1(VALU_DEP_2)
	v_lshlrev_b64 v[20:21], 1, v[20:21]
	v_lshlrev_b64 v[18:19], 1, v[18:19]
	s_delay_alu instid0(VALU_DEP_1) | instskip(NEXT) | instid1(VALU_DEP_2)
	v_add_co_u32 v18, vcc_lo, s2, v18
	v_add_co_ci_u32_e32 v19, vcc_lo, s3, v19, vcc_lo
	s_delay_alu instid0(VALU_DEP_2) | instskip(NEXT) | instid1(VALU_DEP_2)
	v_add_co_u32 v18, vcc_lo, v18, v20
	v_add_co_ci_u32_e32 v19, vcc_lo, v19, v21, vcc_lo
	v_cvt_f16_f32_e32 v20, v9
	global_store_b16 v[18:19], v20, off offset:64
.LBB4_128:
	s_or_b32 exec_lo, exec_lo, s5
	v_or_b32_e32 v18, 2, v17
	s_mov_b32 s5, exec_lo
	s_delay_alu instid0(VALU_DEP_1)
	v_cmpx_gt_i32_e64 s16, v18
	s_cbranch_execz .LBB4_130
; %bb.129:
	v_mul_lo_u32 v18, v18, s17
	s_ashr_i32 s6, s14, 31
	v_add_co_u32 v20, s7, s14, v53
	s_delay_alu instid0(VALU_DEP_1) | instskip(SKIP_1) | instid1(VALU_DEP_3)
	v_add_co_ci_u32_e64 v21, null, s6, 0, s7
	s_waitcnt lgkmcnt(0)
	v_ashrrev_i32_e32 v19, 31, v18
	s_delay_alu instid0(VALU_DEP_2) | instskip(NEXT) | instid1(VALU_DEP_2)
	v_lshlrev_b64 v[20:21], 1, v[20:21]
	v_lshlrev_b64 v[18:19], 1, v[18:19]
	s_delay_alu instid0(VALU_DEP_1) | instskip(NEXT) | instid1(VALU_DEP_2)
	v_add_co_u32 v18, vcc_lo, s2, v18
	v_add_co_ci_u32_e32 v19, vcc_lo, s3, v19, vcc_lo
	s_delay_alu instid0(VALU_DEP_2) | instskip(NEXT) | instid1(VALU_DEP_2)
	v_add_co_u32 v18, vcc_lo, v18, v20
	v_add_co_ci_u32_e32 v19, vcc_lo, v19, v21, vcc_lo
	v_cvt_f16_f32_e32 v20, v10
	global_store_b16 v[18:19], v20, off offset:64
.LBB4_130:
	s_or_b32 exec_lo, exec_lo, s5
	;; [unrolled: 26-line block ×7, first 2 shown]
	v_or_b32_e32 v17, 14, v17
	s_delay_alu instid0(VALU_DEP_1)
	v_cmp_gt_i32_e32 vcc_lo, s16, v17
	s_and_b32 exec_lo, exec_lo, vcc_lo
	s_cbranch_execz .LBB4_142
; %bb.141:
	v_mul_lo_u32 v17, v17, s17
	s_ashr_i32 s5, s14, 31
	s_waitcnt lgkmcnt(0)
	v_add_co_u32 v19, s6, s14, v53
	s_delay_alu instid0(VALU_DEP_1) | instskip(NEXT) | instid1(VALU_DEP_3)
	v_add_co_ci_u32_e64 v20, null, s5, 0, s6
	v_ashrrev_i32_e32 v18, 31, v17
	s_delay_alu instid0(VALU_DEP_2) | instskip(NEXT) | instid1(VALU_DEP_2)
	v_lshlrev_b64 v[19:20], 1, v[19:20]
	v_lshlrev_b64 v[17:18], 1, v[17:18]
	s_delay_alu instid0(VALU_DEP_1) | instskip(NEXT) | instid1(VALU_DEP_2)
	v_add_co_u32 v17, vcc_lo, s2, v17
	v_add_co_ci_u32_e32 v18, vcc_lo, s3, v18, vcc_lo
	s_delay_alu instid0(VALU_DEP_2) | instskip(NEXT) | instid1(VALU_DEP_2)
	v_add_co_u32 v17, vcc_lo, v17, v19
	v_add_co_ci_u32_e32 v18, vcc_lo, v18, v20, vcc_lo
	v_cvt_f16_f32_e32 v19, v16
	global_store_b16 v[17:18], v19, off offset:64
.LBB4_142:
	s_or_b32 exec_lo, exec_lo, s1
	s_cbranch_execnz .LBB4_21
.LBB4_143:
	v_mbcnt_lo_u32_b32 v17, -1, 0
	v_or_b32_e32 v21, s0, v53
	s_delay_alu instid0(VALU_DEP_2) | instskip(NEXT) | instid1(VALU_DEP_1)
	v_xor_b32_e32 v18, 1, v17
	v_cmp_gt_i32_e32 vcc_lo, 32, v18
	v_cndmask_b32_e32 v17, v17, v18, vcc_lo
	s_delay_alu instid0(VALU_DEP_1)
	v_lshlrev_b32_e32 v22, 2, v17
	v_and_b32_e32 v17, 1, v0
	s_waitcnt lgkmcnt(0)
	ds_bpermute_b32 v19, v22, v9
	v_cmp_eq_u32_e32 vcc_lo, 0, v17
	s_and_saveexec_b32 s5, vcc_lo
	s_cbranch_execz .LBB4_147
; %bb.144:
	v_or_b32_e32 v17, v55, v54
	v_cmp_gt_i32_e64 s1, s17, v21
	s_delay_alu instid0(VALU_DEP_2) | instskip(NEXT) | instid1(VALU_DEP_1)
	v_cmp_gt_i32_e64 s0, s16, v17
	s_and_b32 s0, s0, s1
	s_delay_alu instid0(SALU_CYCLE_1)
	s_and_b32 exec_lo, exec_lo, s0
	s_cbranch_execz .LBB4_147
; %bb.145:
	v_mul_lo_u32 v17, v17, s17
	s_ashr_i32 s0, s14, 31
	v_add_co_u32 v23, s1, s14, v53
	s_delay_alu instid0(VALU_DEP_1)
	v_add_co_ci_u32_e64 v24, null, s0, 0, s1
	v_cvt_f16_f32_e32 v9, v9
	s_waitcnt lgkmcnt(0)
	v_cvt_f16_f32_e32 v19, v19
	v_ashrrev_i32_e32 v18, 31, v17
	v_lshlrev_b64 v[23:24], 1, v[23:24]
	s_mov_b32 s1, 0
	s_delay_alu instid0(VALU_DEP_3) | instskip(NEXT) | instid1(VALU_DEP_3)
	v_pack_b32_f16 v9, v9, v19
	v_lshlrev_b64 v[17:18], 1, v[17:18]
	s_delay_alu instid0(VALU_DEP_1) | instskip(NEXT) | instid1(VALU_DEP_1)
	v_add_co_u32 v17, s0, s2, v17
	v_add_co_ci_u32_e64 v18, s0, s3, v18, s0
	s_delay_alu instid0(VALU_DEP_2) | instskip(NEXT) | instid1(VALU_DEP_1)
	v_add_co_u32 v17, s0, v17, v23
	v_add_co_ci_u32_e64 v18, s0, v18, v24, s0
	global_load_b32 v20, v[17:18], off offset:64
.LBB4_146:                              ; =>This Inner Loop Header: Depth=1
	s_waitcnt vmcnt(0)
	v_pk_add_f16 v19, v9, v20
	global_atomic_cmpswap_b32 v19, v[17:18], v[19:20], off offset:64 glc
	s_waitcnt vmcnt(0)
	v_cmp_eq_u32_e64 s0, v19, v20
	v_mov_b32_e32 v20, v19
	s_delay_alu instid0(VALU_DEP_2) | instskip(NEXT) | instid1(SALU_CYCLE_1)
	s_or_b32 s1, s0, s1
	s_and_not1_b32 exec_lo, exec_lo, s1
	s_cbranch_execnz .LBB4_146
.LBB4_147:
	s_or_b32 exec_lo, exec_lo, s5
	ds_bpermute_b32 v9, v22, v10
	s_and_saveexec_b32 s5, vcc_lo
	s_cbranch_execz .LBB4_151
; %bb.148:
	v_or3_b32 v17, v54, v55, 2
	v_cmp_gt_i32_e64 s1, s17, v21
	s_delay_alu instid0(VALU_DEP_2) | instskip(NEXT) | instid1(VALU_DEP_1)
	v_cmp_gt_i32_e64 s0, s16, v17
	s_and_b32 s0, s0, s1
	s_delay_alu instid0(SALU_CYCLE_1)
	s_and_b32 exec_lo, exec_lo, s0
	s_cbranch_execz .LBB4_151
; %bb.149:
	v_mul_lo_u32 v17, v17, s17
	s_ashr_i32 s0, s14, 31
	s_waitcnt lgkmcnt(1)
	v_add_co_u32 v19, s1, s14, v53
	s_delay_alu instid0(VALU_DEP_1)
	v_add_co_ci_u32_e64 v20, null, s0, 0, s1
	v_cvt_f16_f32_e32 v10, v10
	s_waitcnt lgkmcnt(0)
	v_cvt_f16_f32_e32 v9, v9
	v_ashrrev_i32_e32 v18, 31, v17
	v_lshlrev_b64 v[19:20], 1, v[19:20]
	s_mov_b32 s1, 0
	s_delay_alu instid0(VALU_DEP_3) | instskip(NEXT) | instid1(VALU_DEP_3)
	v_pack_b32_f16 v9, v10, v9
	v_lshlrev_b64 v[17:18], 1, v[17:18]
	s_delay_alu instid0(VALU_DEP_1) | instskip(NEXT) | instid1(VALU_DEP_1)
	v_add_co_u32 v17, s0, s2, v17
	v_add_co_ci_u32_e64 v18, s0, s3, v18, s0
	s_delay_alu instid0(VALU_DEP_2) | instskip(NEXT) | instid1(VALU_DEP_1)
	v_add_co_u32 v17, s0, v17, v19
	v_add_co_ci_u32_e64 v18, s0, v18, v20, s0
	global_load_b32 v20, v[17:18], off offset:64
.LBB4_150:                              ; =>This Inner Loop Header: Depth=1
	s_waitcnt vmcnt(0)
	v_pk_add_f16 v19, v9, v20
	global_atomic_cmpswap_b32 v10, v[17:18], v[19:20], off offset:64 glc
	s_waitcnt vmcnt(0)
	v_cmp_eq_u32_e64 s0, v10, v20
	v_mov_b32_e32 v20, v10
	s_delay_alu instid0(VALU_DEP_2) | instskip(NEXT) | instid1(SALU_CYCLE_1)
	s_or_b32 s1, s0, s1
	s_and_not1_b32 exec_lo, exec_lo, s1
	s_cbranch_execnz .LBB4_150
.LBB4_151:
	s_or_b32 exec_lo, exec_lo, s5
	ds_bpermute_b32 v17, v22, v11
	s_and_saveexec_b32 s5, vcc_lo
	s_cbranch_execz .LBB4_155
; %bb.152:
	s_waitcnt lgkmcnt(1)
	v_or3_b32 v9, v54, v55, 4
	v_cmp_gt_i32_e64 s1, s17, v21
	s_delay_alu instid0(VALU_DEP_2) | instskip(NEXT) | instid1(VALU_DEP_1)
	v_cmp_gt_i32_e64 s0, s16, v9
	s_and_b32 s0, s0, s1
	s_delay_alu instid0(SALU_CYCLE_1)
	s_and_b32 exec_lo, exec_lo, s0
	s_cbranch_execz .LBB4_155
; %bb.153:
	v_mul_lo_u32 v9, v9, s17
	s_ashr_i32 s0, s14, 31
	v_add_co_u32 v18, s1, s14, v53
	s_delay_alu instid0(VALU_DEP_1)
	v_add_co_ci_u32_e64 v19, null, s0, 0, s1
	v_cvt_f16_f32_e32 v11, v11
	s_waitcnt lgkmcnt(0)
	v_cvt_f16_f32_e32 v17, v17
	v_ashrrev_i32_e32 v10, 31, v9
	v_lshlrev_b64 v[18:19], 1, v[18:19]
	s_mov_b32 s1, 0
	s_delay_alu instid0(VALU_DEP_3) | instskip(NEXT) | instid1(VALU_DEP_3)
	v_pack_b32_f16 v11, v11, v17
	v_lshlrev_b64 v[9:10], 1, v[9:10]
	s_delay_alu instid0(VALU_DEP_1) | instskip(NEXT) | instid1(VALU_DEP_1)
	v_add_co_u32 v9, s0, s2, v9
	v_add_co_ci_u32_e64 v10, s0, s3, v10, s0
	s_delay_alu instid0(VALU_DEP_2) | instskip(NEXT) | instid1(VALU_DEP_1)
	v_add_co_u32 v9, s0, v9, v18
	v_add_co_ci_u32_e64 v10, s0, v10, v19, s0
	global_load_b32 v18, v[9:10], off offset:64
.LBB4_154:                              ; =>This Inner Loop Header: Depth=1
	s_waitcnt vmcnt(0)
	v_pk_add_f16 v17, v11, v18
	global_atomic_cmpswap_b32 v17, v[9:10], v[17:18], off offset:64 glc
	s_waitcnt vmcnt(0)
	v_cmp_eq_u32_e64 s0, v17, v18
	v_mov_b32_e32 v18, v17
	s_delay_alu instid0(VALU_DEP_2) | instskip(NEXT) | instid1(SALU_CYCLE_1)
	s_or_b32 s1, s0, s1
	s_and_not1_b32 exec_lo, exec_lo, s1
	s_cbranch_execnz .LBB4_154
.LBB4_155:
	s_or_b32 exec_lo, exec_lo, s5
	ds_bpermute_b32 v11, v22, v12
	s_and_saveexec_b32 s5, vcc_lo
	s_cbranch_execz .LBB4_159
; %bb.156:
	s_waitcnt lgkmcnt(2)
	v_or3_b32 v9, v54, v55, 6
	v_cmp_gt_i32_e64 s1, s17, v21
	s_delay_alu instid0(VALU_DEP_2) | instskip(NEXT) | instid1(VALU_DEP_1)
	v_cmp_gt_i32_e64 s0, s16, v9
	s_and_b32 s0, s0, s1
	s_delay_alu instid0(SALU_CYCLE_1)
	s_and_b32 exec_lo, exec_lo, s0
	s_cbranch_execz .LBB4_159
; %bb.157:
	v_mul_lo_u32 v9, v9, s17
	s_ashr_i32 s0, s14, 31
	s_waitcnt lgkmcnt(1)
	v_add_co_u32 v17, s1, s14, v53
	s_delay_alu instid0(VALU_DEP_1)
	v_add_co_ci_u32_e64 v18, null, s0, 0, s1
	v_cvt_f16_f32_e32 v12, v12
	s_waitcnt lgkmcnt(0)
	v_cvt_f16_f32_e32 v11, v11
	v_ashrrev_i32_e32 v10, 31, v9
	v_lshlrev_b64 v[17:18], 1, v[17:18]
	s_mov_b32 s1, 0
	s_delay_alu instid0(VALU_DEP_3) | instskip(NEXT) | instid1(VALU_DEP_3)
	v_pack_b32_f16 v11, v12, v11
	v_lshlrev_b64 v[9:10], 1, v[9:10]
	s_delay_alu instid0(VALU_DEP_1) | instskip(NEXT) | instid1(VALU_DEP_1)
	v_add_co_u32 v9, s0, s2, v9
	v_add_co_ci_u32_e64 v10, s0, s3, v10, s0
	s_delay_alu instid0(VALU_DEP_2) | instskip(NEXT) | instid1(VALU_DEP_1)
	v_add_co_u32 v9, s0, v9, v17
	v_add_co_ci_u32_e64 v10, s0, v10, v18, s0
	global_load_b32 v18, v[9:10], off offset:64
.LBB4_158:                              ; =>This Inner Loop Header: Depth=1
	s_waitcnt vmcnt(0)
	v_pk_add_f16 v17, v11, v18
	global_atomic_cmpswap_b32 v12, v[9:10], v[17:18], off offset:64 glc
	s_waitcnt vmcnt(0)
	v_cmp_eq_u32_e64 s0, v12, v18
	v_mov_b32_e32 v18, v12
	s_delay_alu instid0(VALU_DEP_2) | instskip(NEXT) | instid1(SALU_CYCLE_1)
	s_or_b32 s1, s0, s1
	s_and_not1_b32 exec_lo, exec_lo, s1
	s_cbranch_execnz .LBB4_158
.LBB4_159:
	s_or_b32 exec_lo, exec_lo, s5
	s_waitcnt lgkmcnt(0)
	ds_bpermute_b32 v11, v22, v13
	s_and_saveexec_b32 s5, vcc_lo
	s_cbranch_execz .LBB4_163
; %bb.160:
	v_or3_b32 v9, v54, v55, 8
	v_cmp_gt_i32_e64 s1, s17, v21
	s_delay_alu instid0(VALU_DEP_2) | instskip(NEXT) | instid1(VALU_DEP_1)
	v_cmp_gt_i32_e64 s0, s16, v9
	s_and_b32 s0, s0, s1
	s_delay_alu instid0(SALU_CYCLE_1)
	s_and_b32 exec_lo, exec_lo, s0
	s_cbranch_execz .LBB4_163
; %bb.161:
	v_mul_lo_u32 v9, v9, s17
	s_ashr_i32 s0, s14, 31
	v_add_co_u32 v17, s1, s14, v53
	s_delay_alu instid0(VALU_DEP_1)
	v_add_co_ci_u32_e64 v18, null, s0, 0, s1
	v_cvt_f16_f32_e32 v13, v13
	s_waitcnt lgkmcnt(0)
	v_cvt_f16_f32_e32 v11, v11
	v_ashrrev_i32_e32 v10, 31, v9
	v_lshlrev_b64 v[17:18], 1, v[17:18]
	s_mov_b32 s1, 0
	s_delay_alu instid0(VALU_DEP_3) | instskip(NEXT) | instid1(VALU_DEP_3)
	v_pack_b32_f16 v13, v13, v11
	v_lshlrev_b64 v[9:10], 1, v[9:10]
	s_delay_alu instid0(VALU_DEP_1) | instskip(NEXT) | instid1(VALU_DEP_1)
	v_add_co_u32 v9, s0, s2, v9
	v_add_co_ci_u32_e64 v10, s0, s3, v10, s0
	s_delay_alu instid0(VALU_DEP_2) | instskip(NEXT) | instid1(VALU_DEP_1)
	v_add_co_u32 v9, s0, v9, v17
	v_add_co_ci_u32_e64 v10, s0, v10, v18, s0
	global_load_b32 v12, v[9:10], off offset:64
.LBB4_162:                              ; =>This Inner Loop Header: Depth=1
	s_waitcnt vmcnt(0)
	v_pk_add_f16 v11, v13, v12
	global_atomic_cmpswap_b32 v11, v[9:10], v[11:12], off offset:64 glc
	s_waitcnt vmcnt(0)
	v_cmp_eq_u32_e64 s0, v11, v12
	v_mov_b32_e32 v12, v11
	s_delay_alu instid0(VALU_DEP_2) | instskip(NEXT) | instid1(SALU_CYCLE_1)
	s_or_b32 s1, s0, s1
	s_and_not1_b32 exec_lo, exec_lo, s1
	s_cbranch_execnz .LBB4_162
.LBB4_163:
	s_or_b32 exec_lo, exec_lo, s5
	s_waitcnt lgkmcnt(0)
	ds_bpermute_b32 v11, v22, v14
	s_and_saveexec_b32 s5, vcc_lo
	s_cbranch_execz .LBB4_167
; %bb.164:
	v_or3_b32 v9, v54, v55, 10
	v_cmp_gt_i32_e64 s1, s17, v21
	s_delay_alu instid0(VALU_DEP_2) | instskip(NEXT) | instid1(VALU_DEP_1)
	v_cmp_gt_i32_e64 s0, s16, v9
	s_and_b32 s0, s0, s1
	s_delay_alu instid0(SALU_CYCLE_1)
	s_and_b32 exec_lo, exec_lo, s0
	s_cbranch_execz .LBB4_167
; %bb.165:
	v_mul_lo_u32 v9, v9, s17
	s_ashr_i32 s0, s14, 31
	v_add_co_u32 v12, s1, s14, v53
	s_delay_alu instid0(VALU_DEP_1) | instskip(SKIP_3) | instid1(VALU_DEP_4)
	v_add_co_ci_u32_e64 v13, null, s0, 0, s1
	s_waitcnt lgkmcnt(0)
	v_cvt_f16_f32_e32 v11, v11
	s_mov_b32 s1, 0
	v_ashrrev_i32_e32 v10, 31, v9
	v_lshlrev_b64 v[12:13], 1, v[12:13]
	s_delay_alu instid0(VALU_DEP_2) | instskip(NEXT) | instid1(VALU_DEP_1)
	v_lshlrev_b64 v[9:10], 1, v[9:10]
	v_add_co_u32 v9, s0, s2, v9
	s_delay_alu instid0(VALU_DEP_1) | instskip(NEXT) | instid1(VALU_DEP_2)
	v_add_co_ci_u32_e64 v10, s0, s3, v10, s0
	v_add_co_u32 v9, s0, v9, v12
	s_delay_alu instid0(VALU_DEP_1)
	v_add_co_ci_u32_e64 v10, s0, v10, v13, s0
	v_cvt_f16_f32_e32 v13, v14
	global_load_b32 v12, v[9:10], off offset:64
	v_pack_b32_f16 v13, v13, v11
.LBB4_166:                              ; =>This Inner Loop Header: Depth=1
	s_waitcnt vmcnt(0)
	s_delay_alu instid0(VALU_DEP_1) | instskip(SKIP_4) | instid1(VALU_DEP_2)
	v_pk_add_f16 v11, v13, v12
	global_atomic_cmpswap_b32 v11, v[9:10], v[11:12], off offset:64 glc
	s_waitcnt vmcnt(0)
	v_cmp_eq_u32_e64 s0, v11, v12
	v_mov_b32_e32 v12, v11
	s_or_b32 s1, s0, s1
	s_delay_alu instid0(SALU_CYCLE_1)
	s_and_not1_b32 exec_lo, exec_lo, s1
	s_cbranch_execnz .LBB4_166
.LBB4_167:
	s_or_b32 exec_lo, exec_lo, s5
	s_waitcnt lgkmcnt(0)
	ds_bpermute_b32 v11, v22, v15
	s_and_saveexec_b32 s5, vcc_lo
	s_cbranch_execz .LBB4_171
; %bb.168:
	v_or3_b32 v9, v54, v55, 12
	v_cmp_gt_i32_e64 s1, s17, v21
	s_delay_alu instid0(VALU_DEP_2) | instskip(NEXT) | instid1(VALU_DEP_1)
	v_cmp_gt_i32_e64 s0, s16, v9
	s_and_b32 s0, s0, s1
	s_delay_alu instid0(SALU_CYCLE_1)
	s_and_b32 exec_lo, exec_lo, s0
	s_cbranch_execz .LBB4_171
; %bb.169:
	v_mul_lo_u32 v9, v9, s17
	s_ashr_i32 s0, s14, 31
	v_add_co_u32 v12, s1, s14, v53
	s_delay_alu instid0(VALU_DEP_1) | instskip(SKIP_3) | instid1(VALU_DEP_4)
	v_add_co_ci_u32_e64 v13, null, s0, 0, s1
	s_waitcnt lgkmcnt(0)
	v_cvt_f16_f32_e32 v11, v11
	s_mov_b32 s1, 0
	v_ashrrev_i32_e32 v10, 31, v9
	v_lshlrev_b64 v[12:13], 1, v[12:13]
	s_delay_alu instid0(VALU_DEP_2) | instskip(NEXT) | instid1(VALU_DEP_1)
	v_lshlrev_b64 v[9:10], 1, v[9:10]
	v_add_co_u32 v9, s0, s2, v9
	s_delay_alu instid0(VALU_DEP_1) | instskip(NEXT) | instid1(VALU_DEP_2)
	v_add_co_ci_u32_e64 v10, s0, s3, v10, s0
	v_add_co_u32 v9, s0, v9, v12
	s_delay_alu instid0(VALU_DEP_1)
	v_add_co_ci_u32_e64 v10, s0, v10, v13, s0
	v_cvt_f16_f32_e32 v13, v15
	global_load_b32 v12, v[9:10], off offset:64
	v_pack_b32_f16 v13, v13, v11
.LBB4_170:                              ; =>This Inner Loop Header: Depth=1
	s_waitcnt vmcnt(0)
	s_delay_alu instid0(VALU_DEP_1) | instskip(SKIP_4) | instid1(VALU_DEP_2)
	v_pk_add_f16 v11, v13, v12
	global_atomic_cmpswap_b32 v11, v[9:10], v[11:12], off offset:64 glc
	s_waitcnt vmcnt(0)
	v_cmp_eq_u32_e64 s0, v11, v12
	v_mov_b32_e32 v12, v11
	s_or_b32 s1, s0, s1
	s_delay_alu instid0(SALU_CYCLE_1)
	s_and_not1_b32 exec_lo, exec_lo, s1
	s_cbranch_execnz .LBB4_170
.LBB4_171:
	s_or_b32 exec_lo, exec_lo, s5
	s_waitcnt lgkmcnt(0)
	ds_bpermute_b32 v11, v22, v16
	s_and_saveexec_b32 s1, vcc_lo
	s_cbranch_execz .LBB4_175
; %bb.172:
	v_or3_b32 v9, v54, v55, 14
	v_cmp_gt_i32_e64 s0, s17, v21
	s_delay_alu instid0(VALU_DEP_2) | instskip(NEXT) | instid1(VALU_DEP_2)
	v_cmp_gt_i32_e32 vcc_lo, s16, v9
	s_and_b32 s0, vcc_lo, s0
	s_delay_alu instid0(SALU_CYCLE_1)
	s_and_b32 exec_lo, exec_lo, s0
	s_cbranch_execz .LBB4_175
; %bb.173:
	v_mul_lo_u32 v9, v9, s17
	s_ashr_i32 s0, s14, 31
	v_add_co_u32 v12, s5, s14, v53
	s_delay_alu instid0(VALU_DEP_1) | instskip(SKIP_3) | instid1(VALU_DEP_4)
	v_add_co_ci_u32_e64 v13, null, s0, 0, s5
	s_waitcnt lgkmcnt(0)
	v_cvt_f16_f32_e32 v11, v11
	s_mov_b32 s0, 0
	v_ashrrev_i32_e32 v10, 31, v9
	v_lshlrev_b64 v[12:13], 1, v[12:13]
	s_delay_alu instid0(VALU_DEP_2) | instskip(NEXT) | instid1(VALU_DEP_1)
	v_lshlrev_b64 v[9:10], 1, v[9:10]
	v_add_co_u32 v9, vcc_lo, s2, v9
	s_delay_alu instid0(VALU_DEP_2) | instskip(NEXT) | instid1(VALU_DEP_2)
	v_add_co_ci_u32_e32 v10, vcc_lo, s3, v10, vcc_lo
	v_add_co_u32 v9, vcc_lo, v9, v12
	s_delay_alu instid0(VALU_DEP_2)
	v_add_co_ci_u32_e32 v10, vcc_lo, v10, v13, vcc_lo
	v_cvt_f16_f32_e32 v13, v16
	global_load_b32 v12, v[9:10], off offset:64
	v_pack_b32_f16 v13, v13, v11
.LBB4_174:                              ; =>This Inner Loop Header: Depth=1
	s_waitcnt vmcnt(0)
	s_delay_alu instid0(VALU_DEP_1)
	v_pk_add_f16 v11, v13, v12
	global_atomic_cmpswap_b32 v11, v[9:10], v[11:12], off offset:64 glc
	s_waitcnt vmcnt(0)
	v_cmp_eq_u32_e32 vcc_lo, v11, v12
	v_mov_b32_e32 v12, v11
	s_or_b32 s0, vcc_lo, s0
	s_delay_alu instid0(SALU_CYCLE_1)
	s_and_not1_b32 exec_lo, exec_lo, s0
	s_cbranch_execnz .LBB4_174
.LBB4_175:
	s_or_b32 exec_lo, exec_lo, s1
	s_or_b32 s0, s14, 48
	s_and_b32 vcc_lo, exec_lo, s4
	s_mov_b32 s1, -1
	s_cbranch_vccz .LBB4_22
.LBB4_176:
	v_or_b32_e32 v9, s0, v53
	s_mov_b32 s1, exec_lo
	s_delay_alu instid0(VALU_DEP_1)
	v_cmpx_gt_i32_e64 s17, v9
	s_cbranch_execz .LBB4_193
; %bb.177:
	v_or_b32_e32 v9, v55, v54
	s_mov_b32 s4, exec_lo
	s_delay_alu instid0(VALU_DEP_1)
	v_cmpx_gt_i32_e64 s16, v9
	s_cbranch_execz .LBB4_179
; %bb.178:
	v_mul_lo_u32 v10, v9, s17
	s_ashr_i32 s5, s14, 31
	v_add_co_u32 v12, s6, s14, v53
	s_delay_alu instid0(VALU_DEP_1) | instskip(SKIP_1) | instid1(VALU_DEP_3)
	v_add_co_ci_u32_e64 v13, null, s5, 0, s6
	s_waitcnt lgkmcnt(0)
	v_ashrrev_i32_e32 v11, 31, v10
	s_delay_alu instid0(VALU_DEP_2) | instskip(NEXT) | instid1(VALU_DEP_2)
	v_lshlrev_b64 v[12:13], 1, v[12:13]
	v_lshlrev_b64 v[10:11], 1, v[10:11]
	s_delay_alu instid0(VALU_DEP_1) | instskip(NEXT) | instid1(VALU_DEP_2)
	v_add_co_u32 v10, vcc_lo, s2, v10
	v_add_co_ci_u32_e32 v11, vcc_lo, s3, v11, vcc_lo
	s_delay_alu instid0(VALU_DEP_2) | instskip(NEXT) | instid1(VALU_DEP_2)
	v_add_co_u32 v10, vcc_lo, v10, v12
	v_add_co_ci_u32_e32 v11, vcc_lo, v11, v13, vcc_lo
	v_cvt_f16_f32_e32 v12, v1
	global_store_b16 v[10:11], v12, off offset:96
.LBB4_179:
	s_or_b32 exec_lo, exec_lo, s4
	v_or_b32_e32 v10, 2, v9
	s_mov_b32 s4, exec_lo
	s_delay_alu instid0(VALU_DEP_1)
	v_cmpx_gt_i32_e64 s16, v10
	s_cbranch_execz .LBB4_181
; %bb.180:
	v_mul_lo_u32 v10, v10, s17
	s_ashr_i32 s5, s14, 31
	v_add_co_u32 v12, s6, s14, v53
	s_delay_alu instid0(VALU_DEP_1) | instskip(SKIP_1) | instid1(VALU_DEP_3)
	v_add_co_ci_u32_e64 v13, null, s5, 0, s6
	s_waitcnt lgkmcnt(0)
	v_ashrrev_i32_e32 v11, 31, v10
	s_delay_alu instid0(VALU_DEP_2) | instskip(NEXT) | instid1(VALU_DEP_2)
	v_lshlrev_b64 v[12:13], 1, v[12:13]
	v_lshlrev_b64 v[10:11], 1, v[10:11]
	s_delay_alu instid0(VALU_DEP_1) | instskip(NEXT) | instid1(VALU_DEP_2)
	v_add_co_u32 v10, vcc_lo, s2, v10
	v_add_co_ci_u32_e32 v11, vcc_lo, s3, v11, vcc_lo
	s_delay_alu instid0(VALU_DEP_2) | instskip(NEXT) | instid1(VALU_DEP_2)
	v_add_co_u32 v10, vcc_lo, v10, v12
	v_add_co_ci_u32_e32 v11, vcc_lo, v11, v13, vcc_lo
	v_cvt_f16_f32_e32 v12, v2
	global_store_b16 v[10:11], v12, off offset:96
.LBB4_181:
	s_or_b32 exec_lo, exec_lo, s4
	;; [unrolled: 26-line block ×7, first 2 shown]
	v_or_b32_e32 v9, 14, v9
	s_delay_alu instid0(VALU_DEP_1)
	v_cmp_gt_i32_e32 vcc_lo, s16, v9
	s_and_b32 exec_lo, exec_lo, vcc_lo
	s_cbranch_execz .LBB4_193
; %bb.192:
	v_mul_lo_u32 v9, v9, s17
	s_ashr_i32 s4, s14, 31
	s_waitcnt lgkmcnt(0)
	v_add_co_u32 v11, s5, s14, v53
	s_delay_alu instid0(VALU_DEP_1) | instskip(NEXT) | instid1(VALU_DEP_3)
	v_add_co_ci_u32_e64 v12, null, s4, 0, s5
	v_ashrrev_i32_e32 v10, 31, v9
	s_delay_alu instid0(VALU_DEP_2) | instskip(NEXT) | instid1(VALU_DEP_2)
	v_lshlrev_b64 v[11:12], 1, v[11:12]
	v_lshlrev_b64 v[9:10], 1, v[9:10]
	s_delay_alu instid0(VALU_DEP_1) | instskip(NEXT) | instid1(VALU_DEP_2)
	v_add_co_u32 v9, vcc_lo, s2, v9
	v_add_co_ci_u32_e32 v10, vcc_lo, s3, v10, vcc_lo
	s_delay_alu instid0(VALU_DEP_2) | instskip(NEXT) | instid1(VALU_DEP_2)
	v_add_co_u32 v9, vcc_lo, v9, v11
	v_add_co_ci_u32_e32 v10, vcc_lo, v10, v12, vcc_lo
	v_cvt_f16_f32_e32 v11, v8
	global_store_b16 v[9:10], v11, off offset:96
.LBB4_193:
	s_or_b32 exec_lo, exec_lo, s1
	s_cbranch_execnz .LBB4_226
.LBB4_194:
	v_mbcnt_lo_u32_b32 v9, -1, 0
	v_or_b32_e32 v13, s0, v53
	v_and_b32_e32 v0, 1, v0
	s_delay_alu instid0(VALU_DEP_3) | instskip(NEXT) | instid1(VALU_DEP_1)
	v_xor_b32_e32 v10, 1, v9
	v_cmp_gt_i32_e32 vcc_lo, 32, v10
	v_cndmask_b32_e32 v9, v9, v10, vcc_lo
	s_delay_alu instid0(VALU_DEP_4) | instskip(NEXT) | instid1(VALU_DEP_2)
	v_cmp_eq_u32_e32 vcc_lo, 0, v0
	v_lshlrev_b32_e32 v14, 2, v9
	s_waitcnt lgkmcnt(0)
	ds_bpermute_b32 v11, v14, v1
	s_and_saveexec_b32 s4, vcc_lo
	s_cbranch_execz .LBB4_198
; %bb.195:
	v_or_b32_e32 v0, v55, v54
	v_cmp_gt_i32_e64 s1, s17, v13
	s_delay_alu instid0(VALU_DEP_2) | instskip(NEXT) | instid1(VALU_DEP_1)
	v_cmp_gt_i32_e64 s0, s16, v0
	s_and_b32 s0, s0, s1
	s_delay_alu instid0(SALU_CYCLE_1)
	s_and_b32 exec_lo, exec_lo, s0
	s_cbranch_execz .LBB4_198
; %bb.196:
	v_mul_lo_u32 v9, v0, s17
	s_ashr_i32 s0, s14, 31
	v_add_co_u32 v15, s1, s14, v53
	s_delay_alu instid0(VALU_DEP_1) | instskip(SKIP_1) | instid1(VALU_DEP_3)
	v_add_co_ci_u32_e64 v16, null, s0, 0, s1
	s_mov_b32 s1, 0
	v_ashrrev_i32_e32 v10, 31, v9
	s_delay_alu instid0(VALU_DEP_2) | instskip(NEXT) | instid1(VALU_DEP_2)
	v_lshlrev_b64 v[15:16], 1, v[15:16]
	v_lshlrev_b64 v[9:10], 1, v[9:10]
	s_delay_alu instid0(VALU_DEP_1) | instskip(NEXT) | instid1(VALU_DEP_1)
	v_add_co_u32 v0, s0, s2, v9
	v_add_co_ci_u32_e64 v10, s0, s3, v10, s0
	s_delay_alu instid0(VALU_DEP_2) | instskip(NEXT) | instid1(VALU_DEP_1)
	v_add_co_u32 v9, s0, v0, v15
	v_add_co_ci_u32_e64 v10, s0, v10, v16, s0
	v_cvt_f16_f32_e32 v0, v1
	s_waitcnt lgkmcnt(0)
	v_cvt_f16_f32_e32 v1, v11
	global_load_b32 v12, v[9:10], off offset:96
	v_pack_b32_f16 v0, v0, v1
.LBB4_197:                              ; =>This Inner Loop Header: Depth=1
	s_waitcnt vmcnt(0)
	s_delay_alu instid0(VALU_DEP_1) | instskip(SKIP_4) | instid1(VALU_DEP_2)
	v_pk_add_f16 v11, v0, v12
	global_atomic_cmpswap_b32 v1, v[9:10], v[11:12], off offset:96 glc
	s_waitcnt vmcnt(0)
	v_cmp_eq_u32_e64 s0, v1, v12
	v_mov_b32_e32 v12, v1
	s_or_b32 s1, s0, s1
	s_delay_alu instid0(SALU_CYCLE_1)
	s_and_not1_b32 exec_lo, exec_lo, s1
	s_cbranch_execnz .LBB4_197
.LBB4_198:
	s_or_b32 exec_lo, exec_lo, s4
	ds_bpermute_b32 v9, v14, v2
	s_and_saveexec_b32 s4, vcc_lo
	s_cbranch_execz .LBB4_202
; %bb.199:
	v_or3_b32 v0, v54, v55, 2
	v_cmp_gt_i32_e64 s1, s17, v13
	s_delay_alu instid0(VALU_DEP_2) | instskip(NEXT) | instid1(VALU_DEP_1)
	v_cmp_gt_i32_e64 s0, s16, v0
	s_and_b32 s0, s0, s1
	s_delay_alu instid0(SALU_CYCLE_1)
	s_and_b32 exec_lo, exec_lo, s0
	s_cbranch_execz .LBB4_202
; %bb.200:
	v_mul_lo_u32 v0, v0, s17
	s_ashr_i32 s0, s14, 31
	v_add_co_u32 v10, s1, s14, v53
	s_waitcnt lgkmcnt(1)
	v_add_co_ci_u32_e64 v11, null, s0, 0, s1
	v_cvt_f16_f32_e32 v2, v2
	s_waitcnt lgkmcnt(0)
	v_cvt_f16_f32_e32 v9, v9
	v_ashrrev_i32_e32 v1, 31, v0
	v_lshlrev_b64 v[10:11], 1, v[10:11]
	s_mov_b32 s1, 0
	s_delay_alu instid0(VALU_DEP_3) | instskip(NEXT) | instid1(VALU_DEP_3)
	v_pack_b32_f16 v2, v2, v9
	v_lshlrev_b64 v[0:1], 1, v[0:1]
	s_delay_alu instid0(VALU_DEP_1) | instskip(NEXT) | instid1(VALU_DEP_1)
	v_add_co_u32 v0, s0, s2, v0
	v_add_co_ci_u32_e64 v1, s0, s3, v1, s0
	s_delay_alu instid0(VALU_DEP_2) | instskip(NEXT) | instid1(VALU_DEP_1)
	v_add_co_u32 v0, s0, v0, v10
	v_add_co_ci_u32_e64 v1, s0, v1, v11, s0
	global_load_b32 v10, v[0:1], off offset:96
.LBB4_201:                              ; =>This Inner Loop Header: Depth=1
	s_waitcnt vmcnt(0)
	v_pk_add_f16 v9, v2, v10
	global_atomic_cmpswap_b32 v9, v[0:1], v[9:10], off offset:96 glc
	s_waitcnt vmcnt(0)
	v_cmp_eq_u32_e64 s0, v9, v10
	v_mov_b32_e32 v10, v9
	s_delay_alu instid0(VALU_DEP_2) | instskip(NEXT) | instid1(SALU_CYCLE_1)
	s_or_b32 s1, s0, s1
	s_and_not1_b32 exec_lo, exec_lo, s1
	s_cbranch_execnz .LBB4_201
.LBB4_202:
	s_or_b32 exec_lo, exec_lo, s4
	ds_bpermute_b32 v2, v14, v3
	s_and_saveexec_b32 s4, vcc_lo
	s_cbranch_execz .LBB4_206
; %bb.203:
	v_or3_b32 v0, v54, v55, 4
	v_cmp_gt_i32_e64 s1, s17, v13
	s_delay_alu instid0(VALU_DEP_2) | instskip(NEXT) | instid1(VALU_DEP_1)
	v_cmp_gt_i32_e64 s0, s16, v0
	s_and_b32 s0, s0, s1
	s_delay_alu instid0(SALU_CYCLE_1)
	s_and_b32 exec_lo, exec_lo, s0
	s_cbranch_execz .LBB4_206
; %bb.204:
	v_mul_lo_u32 v0, v0, s17
	s_ashr_i32 s0, s14, 31
	s_waitcnt lgkmcnt(1)
	v_add_co_u32 v9, s1, s14, v53
	s_delay_alu instid0(VALU_DEP_1)
	v_add_co_ci_u32_e64 v10, null, s0, 0, s1
	v_cvt_f16_f32_e32 v3, v3
	s_waitcnt lgkmcnt(0)
	v_cvt_f16_f32_e32 v2, v2
	v_ashrrev_i32_e32 v1, 31, v0
	v_lshlrev_b64 v[9:10], 1, v[9:10]
	s_mov_b32 s1, 0
	s_delay_alu instid0(VALU_DEP_3) | instskip(NEXT) | instid1(VALU_DEP_3)
	v_pack_b32_f16 v2, v3, v2
	v_lshlrev_b64 v[0:1], 1, v[0:1]
	s_delay_alu instid0(VALU_DEP_1) | instskip(NEXT) | instid1(VALU_DEP_1)
	v_add_co_u32 v0, s0, s2, v0
	v_add_co_ci_u32_e64 v1, s0, s3, v1, s0
	s_delay_alu instid0(VALU_DEP_2) | instskip(NEXT) | instid1(VALU_DEP_1)
	v_add_co_u32 v0, s0, v0, v9
	v_add_co_ci_u32_e64 v1, s0, v1, v10, s0
	global_load_b32 v10, v[0:1], off offset:96
.LBB4_205:                              ; =>This Inner Loop Header: Depth=1
	s_waitcnt vmcnt(0)
	v_pk_add_f16 v9, v2, v10
	global_atomic_cmpswap_b32 v3, v[0:1], v[9:10], off offset:96 glc
	s_waitcnt vmcnt(0)
	v_cmp_eq_u32_e64 s0, v3, v10
	v_mov_b32_e32 v10, v3
	s_delay_alu instid0(VALU_DEP_2) | instskip(NEXT) | instid1(SALU_CYCLE_1)
	s_or_b32 s1, s0, s1
	s_and_not1_b32 exec_lo, exec_lo, s1
	s_cbranch_execnz .LBB4_205
.LBB4_206:
	s_or_b32 exec_lo, exec_lo, s4
	s_waitcnt lgkmcnt(0)
	ds_bpermute_b32 v2, v14, v4
	s_and_saveexec_b32 s4, vcc_lo
	s_cbranch_execz .LBB4_210
; %bb.207:
	v_or3_b32 v0, v54, v55, 6
	v_cmp_gt_i32_e64 s1, s17, v13
	s_delay_alu instid0(VALU_DEP_2) | instskip(NEXT) | instid1(VALU_DEP_1)
	v_cmp_gt_i32_e64 s0, s16, v0
	s_and_b32 s0, s0, s1
	s_delay_alu instid0(SALU_CYCLE_1)
	s_and_b32 exec_lo, exec_lo, s0
	s_cbranch_execz .LBB4_210
; %bb.208:
	v_mul_lo_u32 v0, v0, s17
	s_ashr_i32 s0, s14, 31
	v_add_co_u32 v9, s1, s14, v53
	s_delay_alu instid0(VALU_DEP_1)
	v_add_co_ci_u32_e64 v10, null, s0, 0, s1
	v_cvt_f16_f32_e32 v4, v4
	s_waitcnt lgkmcnt(0)
	v_cvt_f16_f32_e32 v2, v2
	v_ashrrev_i32_e32 v1, 31, v0
	v_lshlrev_b64 v[9:10], 1, v[9:10]
	s_mov_b32 s1, 0
	s_delay_alu instid0(VALU_DEP_3) | instskip(NEXT) | instid1(VALU_DEP_3)
	v_pack_b32_f16 v4, v4, v2
	v_lshlrev_b64 v[0:1], 1, v[0:1]
	s_delay_alu instid0(VALU_DEP_1) | instskip(NEXT) | instid1(VALU_DEP_1)
	v_add_co_u32 v0, s0, s2, v0
	v_add_co_ci_u32_e64 v1, s0, s3, v1, s0
	s_delay_alu instid0(VALU_DEP_2) | instskip(NEXT) | instid1(VALU_DEP_1)
	v_add_co_u32 v0, s0, v0, v9
	v_add_co_ci_u32_e64 v1, s0, v1, v10, s0
	global_load_b32 v3, v[0:1], off offset:96
.LBB4_209:                              ; =>This Inner Loop Header: Depth=1
	s_waitcnt vmcnt(0)
	v_pk_add_f16 v2, v4, v3
	global_atomic_cmpswap_b32 v2, v[0:1], v[2:3], off offset:96 glc
	s_waitcnt vmcnt(0)
	v_cmp_eq_u32_e64 s0, v2, v3
	v_mov_b32_e32 v3, v2
	s_delay_alu instid0(VALU_DEP_2) | instskip(NEXT) | instid1(SALU_CYCLE_1)
	s_or_b32 s1, s0, s1
	s_and_not1_b32 exec_lo, exec_lo, s1
	s_cbranch_execnz .LBB4_209
.LBB4_210:
	s_or_b32 exec_lo, exec_lo, s4
	s_waitcnt lgkmcnt(0)
	ds_bpermute_b32 v2, v14, v5
	s_and_saveexec_b32 s4, vcc_lo
	s_cbranch_execz .LBB4_214
; %bb.211:
	v_or3_b32 v0, v54, v55, 8
	v_cmp_gt_i32_e64 s1, s17, v13
	s_delay_alu instid0(VALU_DEP_2) | instskip(NEXT) | instid1(VALU_DEP_1)
	v_cmp_gt_i32_e64 s0, s16, v0
	s_and_b32 s0, s0, s1
	s_delay_alu instid0(SALU_CYCLE_1)
	s_and_b32 exec_lo, exec_lo, s0
	s_cbranch_execz .LBB4_214
; %bb.212:
	v_mul_lo_u32 v0, v0, s17
	s_ashr_i32 s0, s14, 31
	v_add_co_u32 v3, s1, s14, v53
	s_delay_alu instid0(VALU_DEP_1) | instskip(SKIP_3) | instid1(VALU_DEP_4)
	v_add_co_ci_u32_e64 v4, null, s0, 0, s1
	s_waitcnt lgkmcnt(0)
	v_cvt_f16_f32_e32 v2, v2
	s_mov_b32 s1, 0
	v_ashrrev_i32_e32 v1, 31, v0
	v_lshlrev_b64 v[3:4], 1, v[3:4]
	s_delay_alu instid0(VALU_DEP_2) | instskip(NEXT) | instid1(VALU_DEP_1)
	v_lshlrev_b64 v[0:1], 1, v[0:1]
	v_add_co_u32 v0, s0, s2, v0
	s_delay_alu instid0(VALU_DEP_1) | instskip(NEXT) | instid1(VALU_DEP_2)
	v_add_co_ci_u32_e64 v1, s0, s3, v1, s0
	v_add_co_u32 v0, s0, v0, v3
	s_delay_alu instid0(VALU_DEP_1)
	v_add_co_ci_u32_e64 v1, s0, v1, v4, s0
	v_cvt_f16_f32_e32 v4, v5
	global_load_b32 v3, v[0:1], off offset:96
	v_pack_b32_f16 v4, v4, v2
.LBB4_213:                              ; =>This Inner Loop Header: Depth=1
	s_waitcnt vmcnt(0)
	s_delay_alu instid0(VALU_DEP_1) | instskip(SKIP_4) | instid1(VALU_DEP_2)
	v_pk_add_f16 v2, v4, v3
	global_atomic_cmpswap_b32 v2, v[0:1], v[2:3], off offset:96 glc
	s_waitcnt vmcnt(0)
	v_cmp_eq_u32_e64 s0, v2, v3
	v_mov_b32_e32 v3, v2
	s_or_b32 s1, s0, s1
	s_delay_alu instid0(SALU_CYCLE_1)
	s_and_not1_b32 exec_lo, exec_lo, s1
	s_cbranch_execnz .LBB4_213
.LBB4_214:
	s_or_b32 exec_lo, exec_lo, s4
	s_waitcnt lgkmcnt(0)
	ds_bpermute_b32 v2, v14, v6
	s_and_saveexec_b32 s4, vcc_lo
	s_cbranch_execz .LBB4_218
; %bb.215:
	v_or3_b32 v0, v54, v55, 10
	v_cmp_gt_i32_e64 s1, s17, v13
	s_delay_alu instid0(VALU_DEP_2) | instskip(NEXT) | instid1(VALU_DEP_1)
	v_cmp_gt_i32_e64 s0, s16, v0
	s_and_b32 s0, s0, s1
	s_delay_alu instid0(SALU_CYCLE_1)
	s_and_b32 exec_lo, exec_lo, s0
	s_cbranch_execz .LBB4_218
; %bb.216:
	v_mul_lo_u32 v0, v0, s17
	s_ashr_i32 s0, s14, 31
	v_add_co_u32 v3, s1, s14, v53
	s_delay_alu instid0(VALU_DEP_1) | instskip(SKIP_3) | instid1(VALU_DEP_4)
	v_add_co_ci_u32_e64 v4, null, s0, 0, s1
	s_waitcnt lgkmcnt(0)
	v_cvt_f16_f32_e32 v2, v2
	s_mov_b32 s1, 0
	v_ashrrev_i32_e32 v1, 31, v0
	v_lshlrev_b64 v[3:4], 1, v[3:4]
	s_delay_alu instid0(VALU_DEP_2) | instskip(NEXT) | instid1(VALU_DEP_1)
	v_lshlrev_b64 v[0:1], 1, v[0:1]
	v_add_co_u32 v0, s0, s2, v0
	s_delay_alu instid0(VALU_DEP_1) | instskip(NEXT) | instid1(VALU_DEP_2)
	v_add_co_ci_u32_e64 v1, s0, s3, v1, s0
	v_add_co_u32 v0, s0, v0, v3
	s_delay_alu instid0(VALU_DEP_1)
	v_add_co_ci_u32_e64 v1, s0, v1, v4, s0
	v_cvt_f16_f32_e32 v4, v6
	global_load_b32 v3, v[0:1], off offset:96
	v_pack_b32_f16 v4, v4, v2
.LBB4_217:                              ; =>This Inner Loop Header: Depth=1
	s_waitcnt vmcnt(0)
	s_delay_alu instid0(VALU_DEP_1) | instskip(SKIP_4) | instid1(VALU_DEP_2)
	v_pk_add_f16 v2, v4, v3
	global_atomic_cmpswap_b32 v2, v[0:1], v[2:3], off offset:96 glc
	s_waitcnt vmcnt(0)
	v_cmp_eq_u32_e64 s0, v2, v3
	v_mov_b32_e32 v3, v2
	s_or_b32 s1, s0, s1
	s_delay_alu instid0(SALU_CYCLE_1)
	s_and_not1_b32 exec_lo, exec_lo, s1
	s_cbranch_execnz .LBB4_217
.LBB4_218:
	;; [unrolled: 49-line block ×3, first 2 shown]
	s_or_b32 exec_lo, exec_lo, s4
	s_waitcnt lgkmcnt(0)
	ds_bpermute_b32 v2, v14, v8
	s_and_saveexec_b32 s0, vcc_lo
	s_cbranch_execz .LBB4_226
; %bb.223:
	v_or3_b32 v0, v54, v55, 14
	v_cmp_gt_i32_e64 s0, s17, v13
	s_delay_alu instid0(VALU_DEP_2) | instskip(NEXT) | instid1(VALU_DEP_2)
	v_cmp_gt_i32_e32 vcc_lo, s16, v0
	s_and_b32 s0, vcc_lo, s0
	s_delay_alu instid0(SALU_CYCLE_1)
	s_and_b32 exec_lo, exec_lo, s0
	s_cbranch_execz .LBB4_226
; %bb.224:
	v_mul_lo_u32 v0, v0, s17
	s_ashr_i32 s0, s14, 31
	v_add_co_u32 v3, s1, s14, v53
	s_delay_alu instid0(VALU_DEP_1) | instskip(SKIP_3) | instid1(VALU_DEP_4)
	v_add_co_ci_u32_e64 v4, null, s0, 0, s1
	s_waitcnt lgkmcnt(0)
	v_cvt_f16_f32_e32 v2, v2
	s_mov_b32 s0, 0
	v_ashrrev_i32_e32 v1, 31, v0
	v_lshlrev_b64 v[3:4], 1, v[3:4]
	s_delay_alu instid0(VALU_DEP_2) | instskip(NEXT) | instid1(VALU_DEP_1)
	v_lshlrev_b64 v[0:1], 1, v[0:1]
	v_add_co_u32 v0, vcc_lo, s2, v0
	s_delay_alu instid0(VALU_DEP_2) | instskip(NEXT) | instid1(VALU_DEP_2)
	v_add_co_ci_u32_e32 v1, vcc_lo, s3, v1, vcc_lo
	v_add_co_u32 v0, vcc_lo, v0, v3
	s_delay_alu instid0(VALU_DEP_2)
	v_add_co_ci_u32_e32 v1, vcc_lo, v1, v4, vcc_lo
	v_cvt_f16_f32_e32 v4, v8
	global_load_b32 v3, v[0:1], off offset:96
	v_pack_b32_f16 v4, v4, v2
.LBB4_225:                              ; =>This Inner Loop Header: Depth=1
	s_waitcnt vmcnt(0)
	s_delay_alu instid0(VALU_DEP_1)
	v_pk_add_f16 v2, v4, v3
	global_atomic_cmpswap_b32 v2, v[0:1], v[2:3], off offset:96 glc
	s_waitcnt vmcnt(0)
	v_cmp_eq_u32_e32 vcc_lo, v2, v3
	v_mov_b32_e32 v3, v2
	s_or_b32 s0, vcc_lo, s0
	s_delay_alu instid0(SALU_CYCLE_1)
	s_and_not1_b32 exec_lo, exec_lo, s0
	s_cbranch_execnz .LBB4_225
.LBB4_226:
	s_nop 0
	s_sendmsg sendmsg(MSG_DEALLOC_VGPRS)
	s_endpgm
	.section	.rodata,"a",@progbits
	.p2align	6, 0x0
	.amdhsa_kernel _ZN4vllm15gptq_rdna3_wmma30gemm_q4_wmma_kernel_128x64_k32I6__halfEEvPKT_PKjS7_S5_PS3_iiiiiPKi
		.amdhsa_group_segment_fixed_size 8704
		.amdhsa_private_segment_fixed_size 0
		.amdhsa_kernarg_size 328
		.amdhsa_user_sgpr_count 13
		.amdhsa_user_sgpr_dispatch_ptr 0
		.amdhsa_user_sgpr_queue_ptr 0
		.amdhsa_user_sgpr_kernarg_segment_ptr 1
		.amdhsa_user_sgpr_dispatch_id 0
		.amdhsa_user_sgpr_private_segment_size 0
		.amdhsa_wavefront_size32 1
		.amdhsa_uses_dynamic_stack 0
		.amdhsa_enable_private_segment 0
		.amdhsa_system_sgpr_workgroup_id_x 1
		.amdhsa_system_sgpr_workgroup_id_y 1
		.amdhsa_system_sgpr_workgroup_id_z 1
		.amdhsa_system_sgpr_workgroup_info 0
		.amdhsa_system_vgpr_workitem_id 0
		.amdhsa_next_free_vgpr 127
		.amdhsa_next_free_sgpr 29
		.amdhsa_reserve_vcc 1
		.amdhsa_float_round_mode_32 0
		.amdhsa_float_round_mode_16_64 0
		.amdhsa_float_denorm_mode_32 3
		.amdhsa_float_denorm_mode_16_64 3
		.amdhsa_dx10_clamp 1
		.amdhsa_ieee_mode 1
		.amdhsa_fp16_overflow 0
		.amdhsa_workgroup_processor_mode 1
		.amdhsa_memory_ordered 1
		.amdhsa_forward_progress 0
		.amdhsa_shared_vgpr_count 0
		.amdhsa_exception_fp_ieee_invalid_op 0
		.amdhsa_exception_fp_denorm_src 0
		.amdhsa_exception_fp_ieee_div_zero 0
		.amdhsa_exception_fp_ieee_overflow 0
		.amdhsa_exception_fp_ieee_underflow 0
		.amdhsa_exception_fp_ieee_inexact 0
		.amdhsa_exception_int_div_zero 0
	.end_amdhsa_kernel
	.section	.text._ZN4vllm15gptq_rdna3_wmma30gemm_q4_wmma_kernel_128x64_k32I6__halfEEvPKT_PKjS7_S5_PS3_iiiiiPKi,"axG",@progbits,_ZN4vllm15gptq_rdna3_wmma30gemm_q4_wmma_kernel_128x64_k32I6__halfEEvPKT_PKjS7_S5_PS3_iiiiiPKi,comdat
.Lfunc_end4:
	.size	_ZN4vllm15gptq_rdna3_wmma30gemm_q4_wmma_kernel_128x64_k32I6__halfEEvPKT_PKjS7_S5_PS3_iiiiiPKi, .Lfunc_end4-_ZN4vllm15gptq_rdna3_wmma30gemm_q4_wmma_kernel_128x64_k32I6__halfEEvPKT_PKjS7_S5_PS3_iiiiiPKi
                                        ; -- End function
	.section	.AMDGPU.csdata,"",@progbits
; Kernel info:
; codeLenInByte = 14964
; NumSgprs: 31
; NumVgprs: 127
; ScratchSize: 0
; MemoryBound: 1
; FloatMode: 240
; IeeeMode: 1
; LDSByteSize: 8704 bytes/workgroup (compile time only)
; SGPRBlocks: 3
; VGPRBlocks: 15
; NumSGPRsForWavesPerEU: 31
; NumVGPRsForWavesPerEU: 127
; Occupancy: 10
; WaveLimiterHint : 0
; COMPUTE_PGM_RSRC2:SCRATCH_EN: 0
; COMPUTE_PGM_RSRC2:USER_SGPR: 13
; COMPUTE_PGM_RSRC2:TRAP_HANDLER: 0
; COMPUTE_PGM_RSRC2:TGID_X_EN: 1
; COMPUTE_PGM_RSRC2:TGID_Y_EN: 1
; COMPUTE_PGM_RSRC2:TGID_Z_EN: 1
; COMPUTE_PGM_RSRC2:TIDIG_COMP_CNT: 0
	.section	.text._ZN4vllm15gptq_rdna3_wmma30gemm_q4_wmma_kernel_128x64_k16I6__halfEEvPKT_PKjS7_S5_PS3_iiiiiPKi,"axG",@progbits,_ZN4vllm15gptq_rdna3_wmma30gemm_q4_wmma_kernel_128x64_k16I6__halfEEvPKT_PKjS7_S5_PS3_iiiiiPKi,comdat
	.protected	_ZN4vllm15gptq_rdna3_wmma30gemm_q4_wmma_kernel_128x64_k16I6__halfEEvPKT_PKjS7_S5_PS3_iiiiiPKi ; -- Begin function _ZN4vllm15gptq_rdna3_wmma30gemm_q4_wmma_kernel_128x64_k16I6__halfEEvPKT_PKjS7_S5_PS3_iiiiiPKi
	.globl	_ZN4vllm15gptq_rdna3_wmma30gemm_q4_wmma_kernel_128x64_k16I6__halfEEvPKT_PKjS7_S5_PS3_iiiiiPKi
	.p2align	8
	.type	_ZN4vllm15gptq_rdna3_wmma30gemm_q4_wmma_kernel_128x64_k16I6__halfEEvPKT_PKjS7_S5_PS3_iiiiiPKi,@function
_ZN4vllm15gptq_rdna3_wmma30gemm_q4_wmma_kernel_128x64_k16I6__halfEEvPKT_PKjS7_S5_PS3_iiiiiPKi: ; @_ZN4vllm15gptq_rdna3_wmma30gemm_q4_wmma_kernel_128x64_k16I6__halfEEvPKT_PKjS7_S5_PS3_iiiiiPKi
; %bb.0:
	s_load_b128 s[16:19], s[0:1], 0x28
	s_lshl_b32 s22, s14, 7
	s_lshl_b32 s14, s13, 6
	s_waitcnt lgkmcnt(0)
	s_cmp_ge_i32 s22, s16
	s_cselect_b32 s2, -1, 0
	s_cmp_ge_i32 s14, s17
	s_cselect_b32 s3, -1, 0
	s_delay_alu instid0(SALU_CYCLE_1) | instskip(NEXT) | instid1(SALU_CYCLE_1)
	s_or_b32 s2, s2, s3
	s_and_b32 vcc_lo, exec_lo, s2
	s_cbranch_vccnz .LBB5_226
; %bb.1:
	s_load_b32 s20, s[0:1], 0x50
	s_abs_i32 s12, s19
	s_clause 0x2
	s_load_b64 s[2:3], s[0:1], 0x20
	s_load_b32 s21, s[0:1], 0x38
	s_load_b256 s[4:11], s[0:1], 0x0
	v_cvt_f32_u32_e32 v1, s12
	s_xor_b32 s0, s18, s19
	s_sub_i32 s19, 0, s12
	s_abs_i32 s1, s18
	s_ashr_i32 s0, s0, 31
	v_rcp_iflag_f32_e32 v1, v1
	v_dual_mov_b32 v50, 0 :: v_dual_and_b32 v45, 15, v0
	v_bfe_u32 v46, v0, 4, 1
	v_cmp_lt_u32_e32 vcc_lo, 0x7f, v0
	s_delay_alu instid0(VALU_DEP_2) | instskip(SKIP_2) | instid1(VALU_DEP_1)
	v_dual_mov_b32 v49, 0 :: v_dual_lshlrev_b32 v48, 3, v46
	s_waitcnt lgkmcnt(0)
	v_cvt_f32_u32_e32 v2, s20
	v_rcp_iflag_f32_e32 v2, v2
	s_waitcnt_depctr 0xfff
	v_dual_mul_f32 v1, 0x4f7ffffe, v1 :: v_dual_mul_f32 v2, 0x4f7ffffe, v2
	s_delay_alu instid0(VALU_DEP_1) | instskip(NEXT) | instid1(VALU_DEP_2)
	v_cvt_u32_f32_e32 v1, v1
	v_cvt_u32_f32_e32 v2, v2
	s_delay_alu instid0(VALU_DEP_2) | instskip(SKIP_1) | instid1(VALU_DEP_3)
	v_readfirstlane_b32 s13, v1
	v_lshrrev_b32_e32 v1, 1, v0
	v_readfirstlane_b32 s24, v2
	s_delay_alu instid0(VALU_DEP_3) | instskip(NEXT) | instid1(VALU_DEP_2)
	s_mul_i32 s19, s19, s13
	v_and_b32_e32 v1, 0x1f0, v1
	s_mul_hi_u32 s19, s13, s19
	v_mov_b32_e32 v51, -1
	s_add_i32 s13, s13, s19
	s_delay_alu instid0(VALU_DEP_2) | instskip(SKIP_3) | instid1(SALU_CYCLE_1)
	v_add_nc_u32_e32 v2, s14, v1
	s_mul_hi_u32 s13, s1, s13
	v_or_b32_e32 v33, v1, v45
	s_mul_i32 s19, s13, s12
	s_sub_i32 s1, s1, s19
	s_add_i32 s19, s13, 1
	s_sub_i32 s23, s1, s12
	s_cmp_ge_u32 s1, s12
	v_or_b32_e32 v2, v2, v45
	s_cselect_b32 s13, s19, s13
	s_cselect_b32 s1, s23, s1
	s_add_i32 s19, s13, 1
	s_cmp_ge_u32 s1, s12
	v_add_nc_u32_e32 v41, s14, v33
	s_cselect_b32 s1, s19, s13
	s_sub_i32 s12, 0, s20
	s_xor_b32 s1, s1, s0
	s_mul_i32 s12, s12, s24
	s_sub_i32 s13, s1, s0
	s_mul_hi_u32 s12, s24, s12
	v_cmp_le_i32_e64 s0, s17, v2
	s_add_i32 s24, s24, s12
	s_delay_alu instid0(SALU_CYCLE_1) | instskip(NEXT) | instid1(SALU_CYCLE_1)
	s_mul_hi_u32 s12, s18, s24
	s_mul_i32 s19, s12, s20
	s_delay_alu instid0(SALU_CYCLE_1)
	s_sub_i32 s1, s18, s19
	s_add_i32 s19, s12, 1
	s_sub_i32 s23, s1, s20
	s_cmp_ge_u32 s1, s20
	s_cselect_b32 s12, s19, s12
	s_cselect_b32 s1, s23, s1
	s_add_i32 s19, s12, 1
	s_cmp_ge_u32 s1, s20
	s_cselect_b32 s19, s19, s12
	s_or_b32 s0, vcc_lo, s0
	s_mul_i32 s12, s19, s15
	s_xor_b32 s1, s0, -1
	s_delay_alu instid0(SALU_CYCLE_1)
	s_and_saveexec_b32 s0, s1
	s_cbranch_execz .LBB5_5
; %bb.2:
	s_abs_i32 s15, s13
	s_abs_i32 s25, s12
	v_cvt_f32_u32_e32 v2, s15
	s_sub_i32 s24, 0, s15
	v_dual_mov_b32 v50, 0 :: v_dual_mov_b32 v49, 0
	s_delay_alu instid0(VALU_DEP_2) | instskip(SKIP_2) | instid1(VALU_DEP_1)
	v_rcp_iflag_f32_e32 v2, v2
	s_waitcnt_depctr 0xfff
	v_mul_f32_e32 v2, 0x4f7ffffe, v2
	v_cvt_u32_f32_e32 v2, v2
	s_delay_alu instid0(VALU_DEP_1) | instskip(NEXT) | instid1(VALU_DEP_1)
	v_readfirstlane_b32 s23, v2
	s_mul_i32 s24, s24, s23
	s_delay_alu instid0(SALU_CYCLE_1) | instskip(NEXT) | instid1(SALU_CYCLE_1)
	s_mul_hi_u32 s24, s23, s24
	s_add_i32 s23, s23, s24
	s_xor_b32 s24, s12, s13
	s_mul_hi_u32 s23, s25, s23
	s_ashr_i32 s24, s24, 31
	s_mul_i32 s26, s23, s15
	s_delay_alu instid0(SALU_CYCLE_1)
	s_sub_i32 s25, s25, s26
	s_add_i32 s26, s23, 1
	s_sub_i32 s27, s25, s15
	s_cmp_ge_u32 s25, s15
	s_cselect_b32 s23, s26, s23
	s_cselect_b32 s25, s27, s25
	s_add_i32 s26, s23, 1
	s_cmp_ge_u32 s25, s15
	s_cselect_b32 s15, s26, s23
	s_delay_alu instid0(SALU_CYCLE_1) | instskip(NEXT) | instid1(SALU_CYCLE_1)
	s_xor_b32 s15, s15, s24
	s_sub_i32 s15, s15, s24
	s_delay_alu instid0(SALU_CYCLE_1)
	s_cmp_eq_u32 s15, -1
	s_cbranch_scc1 .LBB5_4
; %bb.3:
	v_ashrrev_i32_e32 v2, 31, v41
	s_ashr_i32 s23, s17, 31
	s_delay_alu instid0(SALU_CYCLE_1) | instskip(NEXT) | instid1(SALU_CYCLE_1)
	s_lshr_b32 s23, s23, 29
	s_add_i32 s23, s17, s23
	s_delay_alu instid0(VALU_DEP_1) | instskip(SKIP_1) | instid1(VALU_DEP_1)
	v_lshrrev_b32_e32 v2, 29, v2
	s_ashr_i32 s23, s23, 3
	v_add_nc_u32_e32 v2, v41, v2
	s_delay_alu instid0(VALU_DEP_1) | instskip(NEXT) | instid1(VALU_DEP_1)
	v_ashrrev_i32_e32 v2, 3, v2
	v_mad_u64_u32 v[3:4], null, s15, s23, v[2:3]
	s_delay_alu instid0(VALU_DEP_1) | instskip(NEXT) | instid1(VALU_DEP_1)
	v_ashrrev_i32_e32 v4, 31, v3
	v_lshlrev_b64 v[2:3], 2, v[3:4]
	v_mad_u64_u32 v[4:5], null, s15, s17, v[41:42]
	s_delay_alu instid0(VALU_DEP_2) | instskip(NEXT) | instid1(VALU_DEP_3)
	v_add_co_u32 v2, vcc_lo, s8, v2
	v_add_co_ci_u32_e32 v3, vcc_lo, s9, v3, vcc_lo
	s_delay_alu instid0(VALU_DEP_3) | instskip(SKIP_2) | instid1(VALU_DEP_1)
	v_ashrrev_i32_e32 v5, 31, v4
	global_load_b32 v6, v[2:3], off
	v_lshlrev_b64 v[2:3], 1, v[4:5]
	v_add_co_u32 v2, vcc_lo, s10, v2
	s_delay_alu instid0(VALU_DEP_2) | instskip(SKIP_2) | instid1(VALU_DEP_1)
	v_add_co_ci_u32_e32 v3, vcc_lo, s11, v3, vcc_lo
	global_load_u16 v2, v[2:3], off
	v_lshlrev_b32_e32 v3, 2, v0
	v_and_b32_e32 v3, 28, v3
	s_waitcnt vmcnt(1)
	s_delay_alu instid0(VALU_DEP_1) | instskip(NEXT) | instid1(VALU_DEP_1)
	v_bfe_u32 v3, v6, v3, 4
	v_add_nc_u32_e32 v3, s21, v3
	s_delay_alu instid0(VALU_DEP_1) | instskip(SKIP_2) | instid1(VALU_DEP_2)
	v_or_b32_e32 v3, 0x6400, v3
	s_waitcnt vmcnt(0)
	v_perm_b32 v50, v2, v2, 0x5040100
	v_perm_b32 v49, v3, v3, 0x5040100
.LBB5_4:
	s_ashr_i32 s23, s12, 31
	v_lshlrev_b32_e32 v6, 1, v48
	s_lshr_b32 s23, s23, 29
	v_mov_b32_e32 v51, s15
	s_add_i32 s23, s12, s23
	s_delay_alu instid0(SALU_CYCLE_1) | instskip(SKIP_3) | instid1(VALU_DEP_1)
	s_ashr_i32 s23, s23, 3
	v_lshl_or_b32 v6, v33, 5, v6
	v_add_nc_u32_e32 v4, s23, v46
	s_mov_b32 s23, 0xf000f
	v_mad_u64_u32 v[2:3], null, v4, s17, v[41:42]
	s_delay_alu instid0(VALU_DEP_1) | instskip(NEXT) | instid1(VALU_DEP_1)
	v_ashrrev_i32_e32 v3, 31, v2
	v_lshlrev_b64 v[2:3], 2, v[2:3]
	s_delay_alu instid0(VALU_DEP_1) | instskip(NEXT) | instid1(VALU_DEP_2)
	v_add_co_u32 v2, vcc_lo, s6, v2
	v_add_co_ci_u32_e32 v3, vcc_lo, s7, v3, vcc_lo
	global_load_b32 v2, v[2:3], off
	s_waitcnt vmcnt(0)
	v_lshrrev_b32_e32 v3, 4, v2
	v_lshrrev_b32_e32 v4, 8, v2
	;; [unrolled: 1-line block ×3, first 2 shown]
	v_and_or_b32 v2, v2, s23, 0x64006400
	s_delay_alu instid0(VALU_DEP_4) | instskip(NEXT) | instid1(VALU_DEP_4)
	v_and_or_b32 v3, v3, s23, 0x64006400
	v_and_or_b32 v4, v4, s23, 0x64006400
	s_delay_alu instid0(VALU_DEP_4) | instskip(NEXT) | instid1(VALU_DEP_4)
	v_and_or_b32 v5, v5, s23, 0x64006400
	v_pk_add_f16 v2, v2, v49 neg_lo:[0,1] neg_hi:[0,1]
	s_delay_alu instid0(VALU_DEP_4) | instskip(NEXT) | instid1(VALU_DEP_4)
	v_pk_add_f16 v3, v3, v49 neg_lo:[0,1] neg_hi:[0,1]
	v_pk_add_f16 v4, v4, v49 neg_lo:[0,1] neg_hi:[0,1]
	s_delay_alu instid0(VALU_DEP_4) | instskip(NEXT) | instid1(VALU_DEP_4)
	v_pk_add_f16 v5, v5, v49 neg_lo:[0,1] neg_hi:[0,1]
	v_pk_mul_f16 v2, v50, v2
	s_delay_alu instid0(VALU_DEP_4) | instskip(NEXT) | instid1(VALU_DEP_4)
	v_pk_mul_f16 v3, v50, v3
	v_pk_mul_f16 v4, v50, v4
	s_delay_alu instid0(VALU_DEP_4)
	v_pk_mul_f16 v5, v50, v5
	ds_store_b128 v6, v[2:5]
.LBB5_5:
	s_or_b32 exec_lo, exec_lo, s0
	v_dual_mov_b32 v32, 0 :: v_dual_add_nc_u32 v47, s22, v1
	s_cmp_lt_i32 s19, 1
	s_mov_b32 s22, 0
	s_waitcnt lgkmcnt(0)
	s_delay_alu instid0(VALU_DEP_1)
	v_mov_b32_e32 v31, v32
	v_mov_b32_e32 v30, v32
	;; [unrolled: 1-line block ×31, first 2 shown]
	s_barrier
	buffer_gl0_inv
	s_cbranch_scc1 .LBB5_15
; %bb.6:
	v_or_b32_e32 v3, v47, v45
	s_abs_i32 s15, s13
	v_ashrrev_i32_e32 v5, 31, v41
	v_cvt_f32_u32_e32 v2, s15
	s_ashr_i32 s0, s17, 31
	v_mul_lo_u32 v1, v3, s18
	s_add_i32 s18, s12, s19
	v_lshrrev_b32_e32 v5, 29, v5
	v_rcp_iflag_f32_e32 v4, v2
	s_ashr_i32 s19, s13, 31
	s_ashr_i32 s13, s12, 31
	s_lshr_b32 s0, s0, 29
	s_lshl_b64 s[24:25], s[12:13], 1
	v_ashrrev_i32_e32 v2, 31, v1
	s_add_i32 s0, s17, s0
	s_sub_i32 s23, 0, s15
	v_mov_b32_e32 v25, 0
	v_lshlrev_b32_e32 v53, 5, v33
	v_lshlrev_b64 v[1:2], 1, v[1:2]
	s_waitcnt_depctr 0xfff
	v_mul_f32_e32 v4, 0x4f7ffffe, v4
	v_mov_b32_e32 v26, v25
	v_mov_b32_e32 v27, v25
	;; [unrolled: 1-line block ×3, first 2 shown]
	v_add_co_u32 v1, vcc_lo, s4, v1
	v_add_co_ci_u32_e32 v2, vcc_lo, s5, v2, vcc_lo
	v_cmp_gt_i32_e32 vcc_lo, s16, v3
	v_add_nc_u32_e32 v3, v41, v5
	v_cvt_u32_f32_e32 v4, v4
	v_lshlrev_b32_e32 v6, 2, v0
	s_ashr_i32 s4, s0, 3
	v_dual_cndmask_b32 v1, 0, v1 :: v_dual_cndmask_b32 v2, 0, v2
	s_delay_alu instid0(VALU_DEP_3) | instskip(NEXT) | instid1(VALU_DEP_3)
	v_readfirstlane_b32 s5, v4
	v_and_b32_e32 v52, 28, v6
	v_ashrrev_i32_e32 v42, 3, v3
	s_delay_alu instid0(VALU_DEP_4) | instskip(NEXT) | instid1(VALU_DEP_4)
	v_add_co_u32 v43, s0, v1, s24
	s_mul_i32 s23, s23, s5
	v_cmp_ne_u64_e32 vcc_lo, 0, v[1:2]
	v_add_co_ci_u32_e64 v44, s0, s25, v2, s0
	v_mov_b32_e32 v29, v25
	v_mov_b32_e32 v30, v25
	;; [unrolled: 1-line block ×28, first 2 shown]
	s_mul_hi_u32 s13, s5, s23
	s_delay_alu instid0(SALU_CYCLE_1)
	s_add_i32 s5, s5, s13
	s_add_i32 s13, s12, 16
	s_mov_b32 s12, 0xf000f
.LBB5_7:                                ; =>This Inner Loop Header: Depth=1
	s_cmp_lt_i32 s13, s18
	s_cselect_b32 s0, -1, 0
	s_delay_alu instid0(SALU_CYCLE_1) | instskip(NEXT) | instid1(SALU_CYCLE_1)
	s_and_b32 s0, s1, s0
	s_and_saveexec_b32 s23, s0
	s_cbranch_execz .LBB5_11
; %bb.8:                                ;   in Loop: Header=BB5_7 Depth=1
	s_abs_i32 s0, s13
	s_ashr_i32 s24, s13, 31
	s_mul_hi_u32 s25, s0, s5
	s_xor_b32 s27, s24, s19
	s_mul_i32 s26, s25, s15
	s_delay_alu instid0(SALU_CYCLE_1)
	s_sub_i32 s0, s0, s26
	s_add_i32 s26, s25, 1
	s_sub_i32 s28, s0, s15
	s_cmp_ge_u32 s0, s15
	s_cselect_b32 s25, s26, s25
	s_cselect_b32 s0, s28, s0
	s_add_i32 s26, s25, 1
	s_cmp_ge_u32 s0, s15
	s_cselect_b32 s0, s26, s25
	s_mov_b32 s25, exec_lo
	s_xor_b32 s0, s0, s27
	s_delay_alu instid0(SALU_CYCLE_1) | instskip(NEXT) | instid1(SALU_CYCLE_1)
	s_sub_i32 s26, s0, s27
	v_cmpx_ne_u32_e64 s26, v51
	s_cbranch_execz .LBB5_10
; %bb.9:                                ;   in Loop: Header=BB5_7 Depth=1
	v_mad_u64_u32 v[33:34], null, s26, s4, v[42:43]
	v_mad_u64_u32 v[35:36], null, s26, s17, v[41:42]
	v_mov_b32_e32 v51, s26
	s_delay_alu instid0(VALU_DEP_3) | instskip(NEXT) | instid1(VALU_DEP_3)
	v_ashrrev_i32_e32 v34, 31, v33
	v_ashrrev_i32_e32 v36, 31, v35
	s_delay_alu instid0(VALU_DEP_2) | instskip(NEXT) | instid1(VALU_DEP_1)
	v_lshlrev_b64 v[33:34], 2, v[33:34]
	v_add_co_u32 v33, s0, s8, v33
	s_delay_alu instid0(VALU_DEP_1) | instskip(SKIP_2) | instid1(VALU_DEP_1)
	v_add_co_ci_u32_e64 v34, s0, s9, v34, s0
	global_load_b32 v37, v[33:34], off
	v_lshlrev_b64 v[33:34], 1, v[35:36]
	v_add_co_u32 v33, s0, s10, v33
	s_delay_alu instid0(VALU_DEP_1) | instskip(SKIP_3) | instid1(VALU_DEP_1)
	v_add_co_ci_u32_e64 v34, s0, s11, v34, s0
	global_load_u16 v33, v[33:34], off
	s_waitcnt vmcnt(1)
	v_bfe_u32 v34, v37, v52, 4
	v_add_nc_u32_e32 v34, s21, v34
	s_delay_alu instid0(VALU_DEP_1) | instskip(SKIP_2) | instid1(VALU_DEP_2)
	v_or_b32_e32 v34, 0x6400, v34
	s_waitcnt vmcnt(0)
	v_perm_b32 v50, v33, v33, 0x5040100
	v_perm_b32 v49, v34, v34, 0x5040100
.LBB5_10:                               ;   in Loop: Header=BB5_7 Depth=1
	s_or_b32 exec_lo, exec_lo, s25
	s_lshr_b32 s0, s24, 29
	s_delay_alu instid0(SALU_CYCLE_1) | instskip(NEXT) | instid1(SALU_CYCLE_1)
	s_add_i32 s0, s13, s0
	s_ashr_i32 s0, s0, 3
	s_delay_alu instid0(SALU_CYCLE_1) | instskip(NEXT) | instid1(VALU_DEP_1)
	v_add_nc_u32_e32 v35, s0, v46
	v_mad_u64_u32 v[33:34], null, v35, s17, v[41:42]
	s_delay_alu instid0(VALU_DEP_1) | instskip(NEXT) | instid1(VALU_DEP_1)
	v_ashrrev_i32_e32 v34, 31, v33
	v_lshlrev_b64 v[33:34], 2, v[33:34]
	s_delay_alu instid0(VALU_DEP_1) | instskip(NEXT) | instid1(VALU_DEP_1)
	v_add_co_u32 v33, s0, s6, v33
	v_add_co_ci_u32_e64 v34, s0, s7, v34, s0
	s_lshl_b32 s0, s22, 11
	s_delay_alu instid0(SALU_CYCLE_1)
	v_subrev_nc_u32_e32 v37, s0, v53
	global_load_b32 v33, v[33:34], off
	v_lshl_or_b32 v37, v48, 1, v37
	s_waitcnt vmcnt(0)
	v_lshrrev_b32_e32 v34, 4, v33
	v_lshrrev_b32_e32 v35, 8, v33
	;; [unrolled: 1-line block ×3, first 2 shown]
	v_and_or_b32 v33, v33, s12, 0x64006400
	s_delay_alu instid0(VALU_DEP_4) | instskip(NEXT) | instid1(VALU_DEP_4)
	v_and_or_b32 v34, v34, s12, 0x64006400
	v_and_or_b32 v35, v35, s12, 0x64006400
	s_delay_alu instid0(VALU_DEP_4) | instskip(NEXT) | instid1(VALU_DEP_4)
	v_and_or_b32 v36, v36, s12, 0x64006400
	v_pk_add_f16 v33, v33, v49 neg_lo:[0,1] neg_hi:[0,1]
	s_delay_alu instid0(VALU_DEP_4) | instskip(NEXT) | instid1(VALU_DEP_4)
	v_pk_add_f16 v34, v34, v49 neg_lo:[0,1] neg_hi:[0,1]
	v_pk_add_f16 v35, v35, v49 neg_lo:[0,1] neg_hi:[0,1]
	s_delay_alu instid0(VALU_DEP_4) | instskip(NEXT) | instid1(VALU_DEP_4)
	v_pk_add_f16 v36, v36, v49 neg_lo:[0,1] neg_hi:[0,1]
	v_pk_mul_f16 v33, v50, v33
	s_delay_alu instid0(VALU_DEP_4) | instskip(NEXT) | instid1(VALU_DEP_4)
	v_pk_mul_f16 v34, v50, v34
	v_pk_mul_f16 v35, v50, v35
	s_delay_alu instid0(VALU_DEP_4)
	v_pk_mul_f16 v36, v50, v36
	ds_store_b128 v37, v[33:36] offset:2048
.LBB5_11:                               ;   in Loop: Header=BB5_7 Depth=1
	s_or_b32 exec_lo, exec_lo, s23
	v_mov_b32_e32 v33, 0
	s_delay_alu instid0(VALU_DEP_1)
	v_mov_b32_e32 v34, v33
	v_mov_b32_e32 v35, v33
	;; [unrolled: 1-line block ×7, first 2 shown]
	s_and_saveexec_b32 s0, vcc_lo
; %bb.12:                               ;   in Loop: Header=BB5_7 Depth=1
	s_clause 0x1
	global_load_b128 v[33:36], v[43:44], off
	global_load_b128 v[37:40], v[43:44], off offset:16
; %bb.13:                               ;   in Loop: Header=BB5_7 Depth=1
	s_or_b32 exec_lo, exec_lo, s0
	v_lshlrev_b32_e32 v54, 5, v45
	v_add_co_u32 v43, s0, v43, 32
	s_delay_alu instid0(VALU_DEP_1) | instskip(NEXT) | instid1(VALU_DEP_3)
	v_add_co_ci_u32_e64 v44, s0, 0, v44, s0
	v_lshl_or_b32 v78, s22, 11, v54
	s_sub_i32 s22, 1, s22
	s_add_i32 s0, s13, 16
	s_cmp_ge_i32 s13, s18
	ds_load_b128 v[54:57], v78
	ds_load_b128 v[58:61], v78 offset:16
	ds_load_b128 v[66:69], v78 offset:528
	;; [unrolled: 1-line block ×7, first 2 shown]
	s_waitcnt vmcnt(0) lgkmcnt(0)
	s_barrier
	buffer_gl0_inv
	v_wmma_f32_16x16x16_f16 v[25:32], v[33:40], v[54:61], v[25:32]
	v_wmma_f32_16x16x16_f16 v[17:24], v[33:40], v[62:69], v[17:24]
	;; [unrolled: 1-line block ×4, first 2 shown]
	s_cbranch_scc1 .LBB5_15
; %bb.14:                               ;   in Loop: Header=BB5_7 Depth=1
	s_mov_b32 s13, s0
	s_branch .LBB5_7
.LBB5_15:
	s_cmp_lt_u32 s20, 2
	s_mov_b32 s0, -1
	s_cselect_b32 s4, -1, 0
	s_delay_alu instid0(SALU_CYCLE_1)
	s_and_b32 vcc_lo, exec_lo, s4
	s_cbranch_vccnz .LBB5_23
; %bb.16:
	s_and_not1_b32 vcc_lo, exec_lo, s0
	s_cbranch_vccz .LBB5_41
.LBB5_17:
	s_or_b32 s0, s14, 16
	s_and_b32 vcc_lo, exec_lo, s4
	s_mov_b32 s1, -1
	s_cbranch_vccnz .LBB5_74
.LBB5_18:
	s_and_not1_b32 vcc_lo, exec_lo, s1
	s_cbranch_vccz .LBB5_92
.LBB5_19:
	s_or_b32 s0, s14, 32
	s_and_b32 vcc_lo, exec_lo, s4
	s_mov_b32 s1, -1
	s_cbranch_vccnz .LBB5_125
.LBB5_20:
	s_and_not1_b32 vcc_lo, exec_lo, s1
	s_cbranch_vccz .LBB5_143
.LBB5_21:
	s_or_b32 s0, s14, 48
	s_and_b32 vcc_lo, exec_lo, s4
	s_mov_b32 s1, -1
	s_cbranch_vccnz .LBB5_176
.LBB5_22:
	s_and_not1_b32 vcc_lo, exec_lo, s1
	s_cbranch_vccz .LBB5_194
	s_branch .LBB5_226
.LBB5_23:
	v_or_b32_e32 v33, s14, v45
	s_mov_b32 s0, exec_lo
	s_delay_alu instid0(VALU_DEP_1)
	v_cmpx_gt_i32_e64 s17, v33
	s_cbranch_execz .LBB5_40
; %bb.24:
	v_ashrrev_i32_e32 v34, 31, v33
	v_or_b32_e32 v35, v47, v46
	s_mov_b32 s1, exec_lo
	s_delay_alu instid0(VALU_DEP_2) | instskip(NEXT) | instid1(VALU_DEP_2)
	v_lshlrev_b64 v[33:34], 1, v[33:34]
	v_cmpx_gt_i32_e64 s16, v35
	s_cbranch_execz .LBB5_26
; %bb.25:
	v_mul_lo_u32 v36, v35, s17
	v_cvt_f16_f32_e32 v38, v25
	s_delay_alu instid0(VALU_DEP_2) | instskip(NEXT) | instid1(VALU_DEP_1)
	v_ashrrev_i32_e32 v37, 31, v36
	v_lshlrev_b64 v[36:37], 1, v[36:37]
	s_delay_alu instid0(VALU_DEP_1) | instskip(NEXT) | instid1(VALU_DEP_2)
	v_add_co_u32 v36, vcc_lo, s2, v36
	v_add_co_ci_u32_e32 v37, vcc_lo, s3, v37, vcc_lo
	s_delay_alu instid0(VALU_DEP_2) | instskip(NEXT) | instid1(VALU_DEP_2)
	v_add_co_u32 v36, vcc_lo, v36, v33
	v_add_co_ci_u32_e32 v37, vcc_lo, v37, v34, vcc_lo
	global_store_b16 v[36:37], v38, off
.LBB5_26:
	s_or_b32 exec_lo, exec_lo, s1
	v_or_b32_e32 v36, 2, v35
	s_mov_b32 s1, exec_lo
	s_delay_alu instid0(VALU_DEP_1)
	v_cmpx_gt_i32_e64 s16, v36
	s_cbranch_execz .LBB5_28
; %bb.27:
	v_mul_lo_u32 v36, v36, s17
	v_cvt_f16_f32_e32 v38, v26
	s_delay_alu instid0(VALU_DEP_2) | instskip(NEXT) | instid1(VALU_DEP_1)
	v_ashrrev_i32_e32 v37, 31, v36
	v_lshlrev_b64 v[36:37], 1, v[36:37]
	s_delay_alu instid0(VALU_DEP_1) | instskip(NEXT) | instid1(VALU_DEP_2)
	v_add_co_u32 v36, vcc_lo, s2, v36
	v_add_co_ci_u32_e32 v37, vcc_lo, s3, v37, vcc_lo
	s_delay_alu instid0(VALU_DEP_2) | instskip(NEXT) | instid1(VALU_DEP_2)
	v_add_co_u32 v36, vcc_lo, v36, v33
	v_add_co_ci_u32_e32 v37, vcc_lo, v37, v34, vcc_lo
	global_store_b16 v[36:37], v38, off
.LBB5_28:
	s_or_b32 exec_lo, exec_lo, s1
	v_or_b32_e32 v36, 4, v35
	s_mov_b32 s1, exec_lo
	s_delay_alu instid0(VALU_DEP_1)
	;; [unrolled: 20-line block ×6, first 2 shown]
	v_cmpx_gt_i32_e64 s16, v36
	s_cbranch_execz .LBB5_38
; %bb.37:
	v_mul_lo_u32 v36, v36, s17
	v_cvt_f16_f32_e32 v38, v31
	s_delay_alu instid0(VALU_DEP_2) | instskip(NEXT) | instid1(VALU_DEP_1)
	v_ashrrev_i32_e32 v37, 31, v36
	v_lshlrev_b64 v[36:37], 1, v[36:37]
	s_delay_alu instid0(VALU_DEP_1) | instskip(NEXT) | instid1(VALU_DEP_2)
	v_add_co_u32 v36, vcc_lo, s2, v36
	v_add_co_ci_u32_e32 v37, vcc_lo, s3, v37, vcc_lo
	s_delay_alu instid0(VALU_DEP_2) | instskip(NEXT) | instid1(VALU_DEP_2)
	v_add_co_u32 v36, vcc_lo, v36, v33
	v_add_co_ci_u32_e32 v37, vcc_lo, v37, v34, vcc_lo
	global_store_b16 v[36:37], v38, off
.LBB5_38:
	s_or_b32 exec_lo, exec_lo, s1
	v_or_b32_e32 v35, 14, v35
	s_delay_alu instid0(VALU_DEP_1)
	v_cmp_gt_i32_e32 vcc_lo, s16, v35
	s_and_b32 exec_lo, exec_lo, vcc_lo
	s_cbranch_execz .LBB5_40
; %bb.39:
	v_mul_lo_u32 v35, v35, s17
	s_delay_alu instid0(VALU_DEP_1) | instskip(NEXT) | instid1(VALU_DEP_1)
	v_ashrrev_i32_e32 v36, 31, v35
	v_lshlrev_b64 v[35:36], 1, v[35:36]
	s_delay_alu instid0(VALU_DEP_1) | instskip(NEXT) | instid1(VALU_DEP_2)
	v_add_co_u32 v35, vcc_lo, s2, v35
	v_add_co_ci_u32_e32 v36, vcc_lo, s3, v36, vcc_lo
	s_delay_alu instid0(VALU_DEP_2) | instskip(NEXT) | instid1(VALU_DEP_2)
	v_add_co_u32 v33, vcc_lo, v35, v33
	v_add_co_ci_u32_e32 v34, vcc_lo, v36, v34, vcc_lo
	v_cvt_f16_f32_e32 v35, v32
	global_store_b16 v[33:34], v35, off
.LBB5_40:
	s_or_b32 exec_lo, exec_lo, s0
	s_cbranch_execnz .LBB5_17
.LBB5_41:
	v_mbcnt_lo_u32_b32 v33, -1, 0
	s_delay_alu instid0(VALU_DEP_1) | instskip(NEXT) | instid1(VALU_DEP_1)
	v_xor_b32_e32 v34, 1, v33
	v_cmp_gt_i32_e32 vcc_lo, 32, v34
	v_dual_cndmask_b32 v33, v33, v34 :: v_dual_and_b32 v34, 1, v0
	s_delay_alu instid0(VALU_DEP_1) | instskip(SKIP_1) | instid1(VALU_DEP_3)
	v_lshlrev_b32_e32 v39, 2, v33
	v_or_b32_e32 v33, s14, v45
	v_cmp_eq_u32_e32 vcc_lo, 0, v34
	ds_bpermute_b32 v37, v39, v25
	v_ashrrev_i32_e32 v34, 31, v33
	s_and_saveexec_b32 s5, vcc_lo
	s_cbranch_execz .LBB5_45
; %bb.42:
	v_or_b32_e32 v35, v47, v46
	v_cmp_gt_i32_e64 s1, s17, v33
	s_delay_alu instid0(VALU_DEP_2) | instskip(NEXT) | instid1(VALU_DEP_1)
	v_cmp_gt_i32_e64 s0, s16, v35
	s_and_b32 s0, s0, s1
	s_delay_alu instid0(SALU_CYCLE_1)
	s_and_b32 exec_lo, exec_lo, s0
	s_cbranch_execz .LBB5_45
; %bb.43:
	v_mul_lo_u32 v35, v35, s17
	v_lshlrev_b64 v[40:41], 1, v[33:34]
	v_cvt_f16_f32_e32 v25, v25
	s_waitcnt lgkmcnt(0)
	v_cvt_f16_f32_e32 v37, v37
	s_mov_b32 s1, 0
	s_delay_alu instid0(VALU_DEP_1) | instskip(SKIP_1) | instid1(VALU_DEP_1)
	v_pack_b32_f16 v25, v25, v37
	v_ashrrev_i32_e32 v36, 31, v35
	v_lshlrev_b64 v[35:36], 1, v[35:36]
	s_delay_alu instid0(VALU_DEP_1) | instskip(NEXT) | instid1(VALU_DEP_1)
	v_add_co_u32 v35, s0, s2, v35
	v_add_co_ci_u32_e64 v36, s0, s3, v36, s0
	s_delay_alu instid0(VALU_DEP_2) | instskip(NEXT) | instid1(VALU_DEP_1)
	v_add_co_u32 v35, s0, v35, v40
	v_add_co_ci_u32_e64 v36, s0, v36, v41, s0
	global_load_b32 v38, v[35:36], off
.LBB5_44:                               ; =>This Inner Loop Header: Depth=1
	s_waitcnt vmcnt(0)
	v_pk_add_f16 v37, v25, v38
	global_atomic_cmpswap_b32 v37, v[35:36], v[37:38], off glc
	s_waitcnt vmcnt(0)
	v_cmp_eq_u32_e64 s0, v37, v38
	v_mov_b32_e32 v38, v37
	s_delay_alu instid0(VALU_DEP_2) | instskip(NEXT) | instid1(SALU_CYCLE_1)
	s_or_b32 s1, s0, s1
	s_and_not1_b32 exec_lo, exec_lo, s1
	s_cbranch_execnz .LBB5_44
.LBB5_45:
	s_or_b32 exec_lo, exec_lo, s5
	ds_bpermute_b32 v25, v39, v26
	s_and_saveexec_b32 s5, vcc_lo
	s_cbranch_execz .LBB5_49
; %bb.46:
	v_or3_b32 v35, v46, v47, 2
	v_cmp_gt_i32_e64 s1, s17, v33
	s_delay_alu instid0(VALU_DEP_2) | instskip(NEXT) | instid1(VALU_DEP_1)
	v_cmp_gt_i32_e64 s0, s16, v35
	s_and_b32 s0, s0, s1
	s_delay_alu instid0(SALU_CYCLE_1)
	s_and_b32 exec_lo, exec_lo, s0
	s_cbranch_execz .LBB5_49
; %bb.47:
	v_mul_lo_u32 v35, v35, s17
	s_waitcnt lgkmcnt(1)
	v_lshlrev_b64 v[37:38], 1, v[33:34]
	v_cvt_f16_f32_e32 v26, v26
	s_waitcnt lgkmcnt(0)
	v_cvt_f16_f32_e32 v25, v25
	s_mov_b32 s1, 0
	s_delay_alu instid0(VALU_DEP_1) | instskip(SKIP_1) | instid1(VALU_DEP_1)
	v_pack_b32_f16 v25, v26, v25
	v_ashrrev_i32_e32 v36, 31, v35
	v_lshlrev_b64 v[35:36], 1, v[35:36]
	s_delay_alu instid0(VALU_DEP_1) | instskip(NEXT) | instid1(VALU_DEP_1)
	v_add_co_u32 v35, s0, s2, v35
	v_add_co_ci_u32_e64 v36, s0, s3, v36, s0
	s_delay_alu instid0(VALU_DEP_2) | instskip(NEXT) | instid1(VALU_DEP_1)
	v_add_co_u32 v35, s0, v35, v37
	v_add_co_ci_u32_e64 v36, s0, v36, v38, s0
	global_load_b32 v38, v[35:36], off
.LBB5_48:                               ; =>This Inner Loop Header: Depth=1
	s_waitcnt vmcnt(0)
	v_pk_add_f16 v37, v25, v38
	global_atomic_cmpswap_b32 v26, v[35:36], v[37:38], off glc
	s_waitcnt vmcnt(0)
	v_cmp_eq_u32_e64 s0, v26, v38
	v_mov_b32_e32 v38, v26
	s_delay_alu instid0(VALU_DEP_2) | instskip(NEXT) | instid1(SALU_CYCLE_1)
	s_or_b32 s1, s0, s1
	s_and_not1_b32 exec_lo, exec_lo, s1
	s_cbranch_execnz .LBB5_48
.LBB5_49:
	s_or_b32 exec_lo, exec_lo, s5
	ds_bpermute_b32 v35, v39, v27
	s_and_saveexec_b32 s5, vcc_lo
	s_cbranch_execz .LBB5_53
; %bb.50:
	s_waitcnt lgkmcnt(1)
	v_or3_b32 v25, v46, v47, 4
	v_cmp_gt_i32_e64 s1, s17, v33
	s_delay_alu instid0(VALU_DEP_2) | instskip(NEXT) | instid1(VALU_DEP_1)
	v_cmp_gt_i32_e64 s0, s16, v25
	s_and_b32 s0, s0, s1
	s_delay_alu instid0(SALU_CYCLE_1)
	s_and_b32 exec_lo, exec_lo, s0
	s_cbranch_execz .LBB5_53
; %bb.51:
	v_mul_lo_u32 v25, v25, s17
	v_lshlrev_b64 v[36:37], 1, v[33:34]
	v_cvt_f16_f32_e32 v27, v27
	s_waitcnt lgkmcnt(0)
	v_cvt_f16_f32_e32 v35, v35
	s_mov_b32 s1, 0
	s_delay_alu instid0(VALU_DEP_1) | instskip(SKIP_1) | instid1(VALU_DEP_1)
	v_pack_b32_f16 v27, v27, v35
	v_ashrrev_i32_e32 v26, 31, v25
	v_lshlrev_b64 v[25:26], 1, v[25:26]
	s_delay_alu instid0(VALU_DEP_1) | instskip(NEXT) | instid1(VALU_DEP_1)
	v_add_co_u32 v25, s0, s2, v25
	v_add_co_ci_u32_e64 v26, s0, s3, v26, s0
	s_delay_alu instid0(VALU_DEP_2) | instskip(NEXT) | instid1(VALU_DEP_1)
	v_add_co_u32 v25, s0, v25, v36
	v_add_co_ci_u32_e64 v26, s0, v26, v37, s0
	global_load_b32 v36, v[25:26], off
.LBB5_52:                               ; =>This Inner Loop Header: Depth=1
	s_waitcnt vmcnt(0)
	v_pk_add_f16 v35, v27, v36
	global_atomic_cmpswap_b32 v35, v[25:26], v[35:36], off glc
	s_waitcnt vmcnt(0)
	v_cmp_eq_u32_e64 s0, v35, v36
	v_mov_b32_e32 v36, v35
	s_delay_alu instid0(VALU_DEP_2) | instskip(NEXT) | instid1(SALU_CYCLE_1)
	s_or_b32 s1, s0, s1
	s_and_not1_b32 exec_lo, exec_lo, s1
	s_cbranch_execnz .LBB5_52
.LBB5_53:
	s_or_b32 exec_lo, exec_lo, s5
	ds_bpermute_b32 v27, v39, v28
	s_and_saveexec_b32 s5, vcc_lo
	s_cbranch_execz .LBB5_57
; %bb.54:
	s_waitcnt lgkmcnt(2)
	v_or3_b32 v25, v46, v47, 6
	v_cmp_gt_i32_e64 s1, s17, v33
	s_delay_alu instid0(VALU_DEP_2) | instskip(NEXT) | instid1(VALU_DEP_1)
	v_cmp_gt_i32_e64 s0, s16, v25
	s_and_b32 s0, s0, s1
	s_delay_alu instid0(SALU_CYCLE_1)
	s_and_b32 exec_lo, exec_lo, s0
	s_cbranch_execz .LBB5_57
; %bb.55:
	v_mul_lo_u32 v25, v25, s17
	s_waitcnt lgkmcnt(1)
	v_lshlrev_b64 v[35:36], 1, v[33:34]
	v_cvt_f16_f32_e32 v28, v28
	s_waitcnt lgkmcnt(0)
	v_cvt_f16_f32_e32 v27, v27
	s_mov_b32 s1, 0
	s_delay_alu instid0(VALU_DEP_1) | instskip(SKIP_1) | instid1(VALU_DEP_1)
	v_pack_b32_f16 v27, v28, v27
	v_ashrrev_i32_e32 v26, 31, v25
	v_lshlrev_b64 v[25:26], 1, v[25:26]
	s_delay_alu instid0(VALU_DEP_1) | instskip(NEXT) | instid1(VALU_DEP_1)
	v_add_co_u32 v25, s0, s2, v25
	v_add_co_ci_u32_e64 v26, s0, s3, v26, s0
	s_delay_alu instid0(VALU_DEP_2) | instskip(NEXT) | instid1(VALU_DEP_1)
	v_add_co_u32 v25, s0, v25, v35
	v_add_co_ci_u32_e64 v26, s0, v26, v36, s0
	global_load_b32 v36, v[25:26], off
.LBB5_56:                               ; =>This Inner Loop Header: Depth=1
	s_waitcnt vmcnt(0)
	v_pk_add_f16 v35, v27, v36
	global_atomic_cmpswap_b32 v28, v[25:26], v[35:36], off glc
	s_waitcnt vmcnt(0)
	v_cmp_eq_u32_e64 s0, v28, v36
	v_mov_b32_e32 v36, v28
	s_delay_alu instid0(VALU_DEP_2) | instskip(NEXT) | instid1(SALU_CYCLE_1)
	s_or_b32 s1, s0, s1
	s_and_not1_b32 exec_lo, exec_lo, s1
	s_cbranch_execnz .LBB5_56
.LBB5_57:
	s_or_b32 exec_lo, exec_lo, s5
	s_waitcnt lgkmcnt(0)
	ds_bpermute_b32 v27, v39, v29
	s_and_saveexec_b32 s5, vcc_lo
	s_cbranch_execz .LBB5_61
; %bb.58:
	v_or3_b32 v25, v46, v47, 8
	v_cmp_gt_i32_e64 s1, s17, v33
	s_delay_alu instid0(VALU_DEP_2) | instskip(NEXT) | instid1(VALU_DEP_1)
	v_cmp_gt_i32_e64 s0, s16, v25
	s_and_b32 s0, s0, s1
	s_delay_alu instid0(SALU_CYCLE_1)
	s_and_b32 exec_lo, exec_lo, s0
	s_cbranch_execz .LBB5_61
; %bb.59:
	v_mul_lo_u32 v25, v25, s17
	v_lshlrev_b64 v[35:36], 1, v[33:34]
	v_cvt_f16_f32_e32 v29, v29
	s_waitcnt lgkmcnt(0)
	v_cvt_f16_f32_e32 v27, v27
	s_mov_b32 s1, 0
	s_delay_alu instid0(VALU_DEP_1) | instskip(SKIP_1) | instid1(VALU_DEP_1)
	v_pack_b32_f16 v29, v29, v27
	v_ashrrev_i32_e32 v26, 31, v25
	v_lshlrev_b64 v[25:26], 1, v[25:26]
	s_delay_alu instid0(VALU_DEP_1) | instskip(NEXT) | instid1(VALU_DEP_1)
	v_add_co_u32 v25, s0, s2, v25
	v_add_co_ci_u32_e64 v26, s0, s3, v26, s0
	s_delay_alu instid0(VALU_DEP_2) | instskip(NEXT) | instid1(VALU_DEP_1)
	v_add_co_u32 v25, s0, v25, v35
	v_add_co_ci_u32_e64 v26, s0, v26, v36, s0
	global_load_b32 v28, v[25:26], off
.LBB5_60:                               ; =>This Inner Loop Header: Depth=1
	s_waitcnt vmcnt(0)
	v_pk_add_f16 v27, v29, v28
	global_atomic_cmpswap_b32 v27, v[25:26], v[27:28], off glc
	s_waitcnt vmcnt(0)
	v_cmp_eq_u32_e64 s0, v27, v28
	v_mov_b32_e32 v28, v27
	s_delay_alu instid0(VALU_DEP_2) | instskip(NEXT) | instid1(SALU_CYCLE_1)
	s_or_b32 s1, s0, s1
	s_and_not1_b32 exec_lo, exec_lo, s1
	s_cbranch_execnz .LBB5_60
.LBB5_61:
	s_or_b32 exec_lo, exec_lo, s5
	s_waitcnt lgkmcnt(0)
	ds_bpermute_b32 v27, v39, v30
	s_and_saveexec_b32 s5, vcc_lo
	s_cbranch_execz .LBB5_65
; %bb.62:
	v_or3_b32 v25, v46, v47, 10
	v_cmp_gt_i32_e64 s1, s17, v33
	s_delay_alu instid0(VALU_DEP_2) | instskip(NEXT) | instid1(VALU_DEP_1)
	v_cmp_gt_i32_e64 s0, s16, v25
	s_and_b32 s0, s0, s1
	s_delay_alu instid0(SALU_CYCLE_1)
	s_and_b32 exec_lo, exec_lo, s0
	s_cbranch_execz .LBB5_65
; %bb.63:
	v_mul_lo_u32 v25, v25, s17
	v_lshlrev_b64 v[28:29], 1, v[33:34]
	s_waitcnt lgkmcnt(0)
	v_cvt_f16_f32_e32 v27, v27
	s_mov_b32 s1, 0
	s_delay_alu instid0(VALU_DEP_3) | instskip(NEXT) | instid1(VALU_DEP_1)
	v_ashrrev_i32_e32 v26, 31, v25
	v_lshlrev_b64 v[25:26], 1, v[25:26]
	s_delay_alu instid0(VALU_DEP_1) | instskip(NEXT) | instid1(VALU_DEP_1)
	v_add_co_u32 v25, s0, s2, v25
	v_add_co_ci_u32_e64 v26, s0, s3, v26, s0
	s_delay_alu instid0(VALU_DEP_2) | instskip(NEXT) | instid1(VALU_DEP_1)
	v_add_co_u32 v25, s0, v25, v28
	v_add_co_ci_u32_e64 v26, s0, v26, v29, s0
	v_cvt_f16_f32_e32 v29, v30
	global_load_b32 v28, v[25:26], off
	v_pack_b32_f16 v29, v29, v27
.LBB5_64:                               ; =>This Inner Loop Header: Depth=1
	s_waitcnt vmcnt(0)
	s_delay_alu instid0(VALU_DEP_1) | instskip(SKIP_4) | instid1(VALU_DEP_2)
	v_pk_add_f16 v27, v29, v28
	global_atomic_cmpswap_b32 v27, v[25:26], v[27:28], off glc
	s_waitcnt vmcnt(0)
	v_cmp_eq_u32_e64 s0, v27, v28
	v_mov_b32_e32 v28, v27
	s_or_b32 s1, s0, s1
	s_delay_alu instid0(SALU_CYCLE_1)
	s_and_not1_b32 exec_lo, exec_lo, s1
	s_cbranch_execnz .LBB5_64
.LBB5_65:
	s_or_b32 exec_lo, exec_lo, s5
	s_waitcnt lgkmcnt(0)
	ds_bpermute_b32 v27, v39, v31
	s_and_saveexec_b32 s5, vcc_lo
	s_cbranch_execz .LBB5_69
; %bb.66:
	v_or3_b32 v25, v46, v47, 12
	v_cmp_gt_i32_e64 s1, s17, v33
	s_delay_alu instid0(VALU_DEP_2) | instskip(NEXT) | instid1(VALU_DEP_1)
	v_cmp_gt_i32_e64 s0, s16, v25
	s_and_b32 s0, s0, s1
	s_delay_alu instid0(SALU_CYCLE_1)
	s_and_b32 exec_lo, exec_lo, s0
	s_cbranch_execz .LBB5_69
; %bb.67:
	v_mul_lo_u32 v25, v25, s17
	v_lshlrev_b64 v[28:29], 1, v[33:34]
	s_waitcnt lgkmcnt(0)
	v_cvt_f16_f32_e32 v27, v27
	s_mov_b32 s1, 0
	s_delay_alu instid0(VALU_DEP_3) | instskip(NEXT) | instid1(VALU_DEP_1)
	v_ashrrev_i32_e32 v26, 31, v25
	v_lshlrev_b64 v[25:26], 1, v[25:26]
	s_delay_alu instid0(VALU_DEP_1) | instskip(NEXT) | instid1(VALU_DEP_1)
	v_add_co_u32 v25, s0, s2, v25
	v_add_co_ci_u32_e64 v26, s0, s3, v26, s0
	s_delay_alu instid0(VALU_DEP_2) | instskip(NEXT) | instid1(VALU_DEP_1)
	v_add_co_u32 v25, s0, v25, v28
	v_add_co_ci_u32_e64 v26, s0, v26, v29, s0
	v_cvt_f16_f32_e32 v29, v31
	global_load_b32 v28, v[25:26], off
	v_pack_b32_f16 v29, v29, v27
.LBB5_68:                               ; =>This Inner Loop Header: Depth=1
	s_waitcnt vmcnt(0)
	s_delay_alu instid0(VALU_DEP_1) | instskip(SKIP_4) | instid1(VALU_DEP_2)
	v_pk_add_f16 v27, v29, v28
	global_atomic_cmpswap_b32 v27, v[25:26], v[27:28], off glc
	s_waitcnt vmcnt(0)
	v_cmp_eq_u32_e64 s0, v27, v28
	v_mov_b32_e32 v28, v27
	s_or_b32 s1, s0, s1
	s_delay_alu instid0(SALU_CYCLE_1)
	s_and_not1_b32 exec_lo, exec_lo, s1
	s_cbranch_execnz .LBB5_68
.LBB5_69:
	s_or_b32 exec_lo, exec_lo, s5
	s_waitcnt lgkmcnt(0)
	ds_bpermute_b32 v27, v39, v32
	s_and_saveexec_b32 s1, vcc_lo
	s_cbranch_execz .LBB5_73
; %bb.70:
	v_or3_b32 v25, v46, v47, 14
	v_cmp_gt_i32_e64 s0, s17, v33
	s_delay_alu instid0(VALU_DEP_2) | instskip(NEXT) | instid1(VALU_DEP_2)
	v_cmp_gt_i32_e32 vcc_lo, s16, v25
	s_and_b32 s0, vcc_lo, s0
	s_delay_alu instid0(SALU_CYCLE_1)
	s_and_b32 exec_lo, exec_lo, s0
	s_cbranch_execz .LBB5_73
; %bb.71:
	v_mul_lo_u32 v25, v25, s17
	v_lshlrev_b64 v[28:29], 1, v[33:34]
	s_waitcnt lgkmcnt(0)
	v_cvt_f16_f32_e32 v27, v27
	s_mov_b32 s0, 0
	s_delay_alu instid0(VALU_DEP_3) | instskip(NEXT) | instid1(VALU_DEP_1)
	v_ashrrev_i32_e32 v26, 31, v25
	v_lshlrev_b64 v[25:26], 1, v[25:26]
	s_delay_alu instid0(VALU_DEP_1) | instskip(NEXT) | instid1(VALU_DEP_2)
	v_add_co_u32 v25, vcc_lo, s2, v25
	v_add_co_ci_u32_e32 v26, vcc_lo, s3, v26, vcc_lo
	s_delay_alu instid0(VALU_DEP_2) | instskip(NEXT) | instid1(VALU_DEP_2)
	v_add_co_u32 v25, vcc_lo, v25, v28
	v_add_co_ci_u32_e32 v26, vcc_lo, v26, v29, vcc_lo
	v_cvt_f16_f32_e32 v29, v32
	global_load_b32 v28, v[25:26], off
	v_pack_b32_f16 v29, v29, v27
.LBB5_72:                               ; =>This Inner Loop Header: Depth=1
	s_waitcnt vmcnt(0)
	s_delay_alu instid0(VALU_DEP_1)
	v_pk_add_f16 v27, v29, v28
	global_atomic_cmpswap_b32 v27, v[25:26], v[27:28], off glc
	s_waitcnt vmcnt(0)
	v_cmp_eq_u32_e32 vcc_lo, v27, v28
	v_mov_b32_e32 v28, v27
	s_or_b32 s0, vcc_lo, s0
	s_delay_alu instid0(SALU_CYCLE_1)
	s_and_not1_b32 exec_lo, exec_lo, s0
	s_cbranch_execnz .LBB5_72
.LBB5_73:
	s_or_b32 exec_lo, exec_lo, s1
	s_or_b32 s0, s14, 16
	s_and_b32 vcc_lo, exec_lo, s4
	s_mov_b32 s1, -1
	s_cbranch_vccz .LBB5_18
.LBB5_74:
	v_or_b32_e32 v25, s0, v45
	s_mov_b32 s1, exec_lo
	s_delay_alu instid0(VALU_DEP_1)
	v_cmpx_gt_i32_e64 s17, v25
	s_cbranch_execz .LBB5_91
; %bb.75:
	v_or_b32_e32 v25, v47, v46
	s_mov_b32 s5, exec_lo
	s_delay_alu instid0(VALU_DEP_1)
	v_cmpx_gt_i32_e64 s16, v25
	s_cbranch_execz .LBB5_77
; %bb.76:
	v_mul_lo_u32 v26, v25, s17
	s_ashr_i32 s6, s14, 31
	v_add_co_u32 v28, s7, s14, v45
	s_delay_alu instid0(VALU_DEP_1) | instskip(SKIP_1) | instid1(VALU_DEP_3)
	v_add_co_ci_u32_e64 v29, null, s6, 0, s7
	s_waitcnt lgkmcnt(0)
	v_ashrrev_i32_e32 v27, 31, v26
	s_delay_alu instid0(VALU_DEP_2) | instskip(NEXT) | instid1(VALU_DEP_2)
	v_lshlrev_b64 v[28:29], 1, v[28:29]
	v_lshlrev_b64 v[26:27], 1, v[26:27]
	s_delay_alu instid0(VALU_DEP_1) | instskip(NEXT) | instid1(VALU_DEP_2)
	v_add_co_u32 v26, vcc_lo, s2, v26
	v_add_co_ci_u32_e32 v27, vcc_lo, s3, v27, vcc_lo
	s_delay_alu instid0(VALU_DEP_2) | instskip(NEXT) | instid1(VALU_DEP_2)
	v_add_co_u32 v26, vcc_lo, v26, v28
	v_add_co_ci_u32_e32 v27, vcc_lo, v27, v29, vcc_lo
	v_cvt_f16_f32_e32 v28, v17
	global_store_b16 v[26:27], v28, off offset:32
.LBB5_77:
	s_or_b32 exec_lo, exec_lo, s5
	v_or_b32_e32 v26, 2, v25
	s_mov_b32 s5, exec_lo
	s_delay_alu instid0(VALU_DEP_1)
	v_cmpx_gt_i32_e64 s16, v26
	s_cbranch_execz .LBB5_79
; %bb.78:
	v_mul_lo_u32 v26, v26, s17
	s_ashr_i32 s6, s14, 31
	v_add_co_u32 v28, s7, s14, v45
	s_delay_alu instid0(VALU_DEP_1) | instskip(SKIP_1) | instid1(VALU_DEP_3)
	v_add_co_ci_u32_e64 v29, null, s6, 0, s7
	s_waitcnt lgkmcnt(0)
	v_ashrrev_i32_e32 v27, 31, v26
	s_delay_alu instid0(VALU_DEP_2) | instskip(NEXT) | instid1(VALU_DEP_2)
	v_lshlrev_b64 v[28:29], 1, v[28:29]
	v_lshlrev_b64 v[26:27], 1, v[26:27]
	s_delay_alu instid0(VALU_DEP_1) | instskip(NEXT) | instid1(VALU_DEP_2)
	v_add_co_u32 v26, vcc_lo, s2, v26
	v_add_co_ci_u32_e32 v27, vcc_lo, s3, v27, vcc_lo
	s_delay_alu instid0(VALU_DEP_2) | instskip(NEXT) | instid1(VALU_DEP_2)
	v_add_co_u32 v26, vcc_lo, v26, v28
	v_add_co_ci_u32_e32 v27, vcc_lo, v27, v29, vcc_lo
	v_cvt_f16_f32_e32 v28, v18
	global_store_b16 v[26:27], v28, off offset:32
.LBB5_79:
	s_or_b32 exec_lo, exec_lo, s5
	;; [unrolled: 26-line block ×7, first 2 shown]
	v_or_b32_e32 v25, 14, v25
	s_delay_alu instid0(VALU_DEP_1)
	v_cmp_gt_i32_e32 vcc_lo, s16, v25
	s_and_b32 exec_lo, exec_lo, vcc_lo
	s_cbranch_execz .LBB5_91
; %bb.90:
	v_mul_lo_u32 v25, v25, s17
	s_ashr_i32 s5, s14, 31
	s_waitcnt lgkmcnt(0)
	v_add_co_u32 v27, s6, s14, v45
	s_delay_alu instid0(VALU_DEP_1) | instskip(NEXT) | instid1(VALU_DEP_3)
	v_add_co_ci_u32_e64 v28, null, s5, 0, s6
	v_ashrrev_i32_e32 v26, 31, v25
	s_delay_alu instid0(VALU_DEP_2) | instskip(NEXT) | instid1(VALU_DEP_2)
	v_lshlrev_b64 v[27:28], 1, v[27:28]
	v_lshlrev_b64 v[25:26], 1, v[25:26]
	s_delay_alu instid0(VALU_DEP_1) | instskip(NEXT) | instid1(VALU_DEP_2)
	v_add_co_u32 v25, vcc_lo, s2, v25
	v_add_co_ci_u32_e32 v26, vcc_lo, s3, v26, vcc_lo
	s_delay_alu instid0(VALU_DEP_2) | instskip(NEXT) | instid1(VALU_DEP_2)
	v_add_co_u32 v25, vcc_lo, v25, v27
	v_add_co_ci_u32_e32 v26, vcc_lo, v26, v28, vcc_lo
	v_cvt_f16_f32_e32 v27, v24
	global_store_b16 v[25:26], v27, off offset:32
.LBB5_91:
	s_or_b32 exec_lo, exec_lo, s1
	s_cbranch_execnz .LBB5_19
.LBB5_92:
	v_mbcnt_lo_u32_b32 v25, -1, 0
	v_or_b32_e32 v29, s0, v45
	s_delay_alu instid0(VALU_DEP_2) | instskip(NEXT) | instid1(VALU_DEP_1)
	v_xor_b32_e32 v26, 1, v25
	v_cmp_gt_i32_e32 vcc_lo, 32, v26
	v_cndmask_b32_e32 v25, v25, v26, vcc_lo
	s_delay_alu instid0(VALU_DEP_1)
	v_lshlrev_b32_e32 v30, 2, v25
	v_and_b32_e32 v25, 1, v0
	s_waitcnt lgkmcnt(0)
	ds_bpermute_b32 v27, v30, v17
	v_cmp_eq_u32_e32 vcc_lo, 0, v25
	s_and_saveexec_b32 s5, vcc_lo
	s_cbranch_execz .LBB5_96
; %bb.93:
	v_or_b32_e32 v25, v47, v46
	v_cmp_gt_i32_e64 s1, s17, v29
	s_delay_alu instid0(VALU_DEP_2) | instskip(NEXT) | instid1(VALU_DEP_1)
	v_cmp_gt_i32_e64 s0, s16, v25
	s_and_b32 s0, s0, s1
	s_delay_alu instid0(SALU_CYCLE_1)
	s_and_b32 exec_lo, exec_lo, s0
	s_cbranch_execz .LBB5_96
; %bb.94:
	v_mul_lo_u32 v25, v25, s17
	s_ashr_i32 s0, s14, 31
	v_add_co_u32 v31, s1, s14, v45
	s_delay_alu instid0(VALU_DEP_1)
	v_add_co_ci_u32_e64 v32, null, s0, 0, s1
	v_cvt_f16_f32_e32 v17, v17
	s_waitcnt lgkmcnt(0)
	v_cvt_f16_f32_e32 v27, v27
	v_ashrrev_i32_e32 v26, 31, v25
	v_lshlrev_b64 v[31:32], 1, v[31:32]
	s_mov_b32 s1, 0
	s_delay_alu instid0(VALU_DEP_3) | instskip(NEXT) | instid1(VALU_DEP_3)
	v_pack_b32_f16 v17, v17, v27
	v_lshlrev_b64 v[25:26], 1, v[25:26]
	s_delay_alu instid0(VALU_DEP_1) | instskip(NEXT) | instid1(VALU_DEP_1)
	v_add_co_u32 v25, s0, s2, v25
	v_add_co_ci_u32_e64 v26, s0, s3, v26, s0
	s_delay_alu instid0(VALU_DEP_2) | instskip(NEXT) | instid1(VALU_DEP_1)
	v_add_co_u32 v25, s0, v25, v31
	v_add_co_ci_u32_e64 v26, s0, v26, v32, s0
	global_load_b32 v28, v[25:26], off offset:32
.LBB5_95:                               ; =>This Inner Loop Header: Depth=1
	s_waitcnt vmcnt(0)
	v_pk_add_f16 v27, v17, v28
	global_atomic_cmpswap_b32 v27, v[25:26], v[27:28], off offset:32 glc
	s_waitcnt vmcnt(0)
	v_cmp_eq_u32_e64 s0, v27, v28
	v_mov_b32_e32 v28, v27
	s_delay_alu instid0(VALU_DEP_2) | instskip(NEXT) | instid1(SALU_CYCLE_1)
	s_or_b32 s1, s0, s1
	s_and_not1_b32 exec_lo, exec_lo, s1
	s_cbranch_execnz .LBB5_95
.LBB5_96:
	s_or_b32 exec_lo, exec_lo, s5
	ds_bpermute_b32 v17, v30, v18
	s_and_saveexec_b32 s5, vcc_lo
	s_cbranch_execz .LBB5_100
; %bb.97:
	v_or3_b32 v25, v46, v47, 2
	v_cmp_gt_i32_e64 s1, s17, v29
	s_delay_alu instid0(VALU_DEP_2) | instskip(NEXT) | instid1(VALU_DEP_1)
	v_cmp_gt_i32_e64 s0, s16, v25
	s_and_b32 s0, s0, s1
	s_delay_alu instid0(SALU_CYCLE_1)
	s_and_b32 exec_lo, exec_lo, s0
	s_cbranch_execz .LBB5_100
; %bb.98:
	v_mul_lo_u32 v25, v25, s17
	s_ashr_i32 s0, s14, 31
	s_waitcnt lgkmcnt(1)
	v_add_co_u32 v27, s1, s14, v45
	s_delay_alu instid0(VALU_DEP_1)
	v_add_co_ci_u32_e64 v28, null, s0, 0, s1
	v_cvt_f16_f32_e32 v18, v18
	s_waitcnt lgkmcnt(0)
	v_cvt_f16_f32_e32 v17, v17
	v_ashrrev_i32_e32 v26, 31, v25
	v_lshlrev_b64 v[27:28], 1, v[27:28]
	s_mov_b32 s1, 0
	s_delay_alu instid0(VALU_DEP_3) | instskip(NEXT) | instid1(VALU_DEP_3)
	v_pack_b32_f16 v17, v18, v17
	v_lshlrev_b64 v[25:26], 1, v[25:26]
	s_delay_alu instid0(VALU_DEP_1) | instskip(NEXT) | instid1(VALU_DEP_1)
	v_add_co_u32 v25, s0, s2, v25
	v_add_co_ci_u32_e64 v26, s0, s3, v26, s0
	s_delay_alu instid0(VALU_DEP_2) | instskip(NEXT) | instid1(VALU_DEP_1)
	v_add_co_u32 v25, s0, v25, v27
	v_add_co_ci_u32_e64 v26, s0, v26, v28, s0
	global_load_b32 v28, v[25:26], off offset:32
.LBB5_99:                               ; =>This Inner Loop Header: Depth=1
	s_waitcnt vmcnt(0)
	v_pk_add_f16 v27, v17, v28
	global_atomic_cmpswap_b32 v18, v[25:26], v[27:28], off offset:32 glc
	s_waitcnt vmcnt(0)
	v_cmp_eq_u32_e64 s0, v18, v28
	v_mov_b32_e32 v28, v18
	s_delay_alu instid0(VALU_DEP_2) | instskip(NEXT) | instid1(SALU_CYCLE_1)
	s_or_b32 s1, s0, s1
	s_and_not1_b32 exec_lo, exec_lo, s1
	s_cbranch_execnz .LBB5_99
.LBB5_100:
	s_or_b32 exec_lo, exec_lo, s5
	ds_bpermute_b32 v25, v30, v19
	s_and_saveexec_b32 s5, vcc_lo
	s_cbranch_execz .LBB5_104
; %bb.101:
	s_waitcnt lgkmcnt(1)
	v_or3_b32 v17, v46, v47, 4
	v_cmp_gt_i32_e64 s1, s17, v29
	s_delay_alu instid0(VALU_DEP_2) | instskip(NEXT) | instid1(VALU_DEP_1)
	v_cmp_gt_i32_e64 s0, s16, v17
	s_and_b32 s0, s0, s1
	s_delay_alu instid0(SALU_CYCLE_1)
	s_and_b32 exec_lo, exec_lo, s0
	s_cbranch_execz .LBB5_104
; %bb.102:
	v_mul_lo_u32 v17, v17, s17
	s_ashr_i32 s0, s14, 31
	v_add_co_u32 v26, s1, s14, v45
	s_delay_alu instid0(VALU_DEP_1)
	v_add_co_ci_u32_e64 v27, null, s0, 0, s1
	v_cvt_f16_f32_e32 v19, v19
	s_waitcnt lgkmcnt(0)
	v_cvt_f16_f32_e32 v25, v25
	v_ashrrev_i32_e32 v18, 31, v17
	v_lshlrev_b64 v[26:27], 1, v[26:27]
	s_mov_b32 s1, 0
	s_delay_alu instid0(VALU_DEP_3) | instskip(NEXT) | instid1(VALU_DEP_3)
	v_pack_b32_f16 v19, v19, v25
	v_lshlrev_b64 v[17:18], 1, v[17:18]
	s_delay_alu instid0(VALU_DEP_1) | instskip(NEXT) | instid1(VALU_DEP_1)
	v_add_co_u32 v17, s0, s2, v17
	v_add_co_ci_u32_e64 v18, s0, s3, v18, s0
	s_delay_alu instid0(VALU_DEP_2) | instskip(NEXT) | instid1(VALU_DEP_1)
	v_add_co_u32 v17, s0, v17, v26
	v_add_co_ci_u32_e64 v18, s0, v18, v27, s0
	global_load_b32 v26, v[17:18], off offset:32
.LBB5_103:                              ; =>This Inner Loop Header: Depth=1
	s_waitcnt vmcnt(0)
	v_pk_add_f16 v25, v19, v26
	global_atomic_cmpswap_b32 v25, v[17:18], v[25:26], off offset:32 glc
	s_waitcnt vmcnt(0)
	v_cmp_eq_u32_e64 s0, v25, v26
	v_mov_b32_e32 v26, v25
	s_delay_alu instid0(VALU_DEP_2) | instskip(NEXT) | instid1(SALU_CYCLE_1)
	s_or_b32 s1, s0, s1
	s_and_not1_b32 exec_lo, exec_lo, s1
	s_cbranch_execnz .LBB5_103
.LBB5_104:
	s_or_b32 exec_lo, exec_lo, s5
	ds_bpermute_b32 v19, v30, v20
	s_and_saveexec_b32 s5, vcc_lo
	s_cbranch_execz .LBB5_108
; %bb.105:
	s_waitcnt lgkmcnt(2)
	v_or3_b32 v17, v46, v47, 6
	v_cmp_gt_i32_e64 s1, s17, v29
	s_delay_alu instid0(VALU_DEP_2) | instskip(NEXT) | instid1(VALU_DEP_1)
	v_cmp_gt_i32_e64 s0, s16, v17
	s_and_b32 s0, s0, s1
	s_delay_alu instid0(SALU_CYCLE_1)
	s_and_b32 exec_lo, exec_lo, s0
	s_cbranch_execz .LBB5_108
; %bb.106:
	v_mul_lo_u32 v17, v17, s17
	s_ashr_i32 s0, s14, 31
	s_waitcnt lgkmcnt(1)
	v_add_co_u32 v25, s1, s14, v45
	s_delay_alu instid0(VALU_DEP_1)
	v_add_co_ci_u32_e64 v26, null, s0, 0, s1
	v_cvt_f16_f32_e32 v20, v20
	s_waitcnt lgkmcnt(0)
	v_cvt_f16_f32_e32 v19, v19
	v_ashrrev_i32_e32 v18, 31, v17
	v_lshlrev_b64 v[25:26], 1, v[25:26]
	s_mov_b32 s1, 0
	s_delay_alu instid0(VALU_DEP_3) | instskip(NEXT) | instid1(VALU_DEP_3)
	v_pack_b32_f16 v19, v20, v19
	v_lshlrev_b64 v[17:18], 1, v[17:18]
	s_delay_alu instid0(VALU_DEP_1) | instskip(NEXT) | instid1(VALU_DEP_1)
	v_add_co_u32 v17, s0, s2, v17
	v_add_co_ci_u32_e64 v18, s0, s3, v18, s0
	s_delay_alu instid0(VALU_DEP_2) | instskip(NEXT) | instid1(VALU_DEP_1)
	v_add_co_u32 v17, s0, v17, v25
	v_add_co_ci_u32_e64 v18, s0, v18, v26, s0
	global_load_b32 v26, v[17:18], off offset:32
.LBB5_107:                              ; =>This Inner Loop Header: Depth=1
	s_waitcnt vmcnt(0)
	v_pk_add_f16 v25, v19, v26
	global_atomic_cmpswap_b32 v20, v[17:18], v[25:26], off offset:32 glc
	s_waitcnt vmcnt(0)
	v_cmp_eq_u32_e64 s0, v20, v26
	v_mov_b32_e32 v26, v20
	s_delay_alu instid0(VALU_DEP_2) | instskip(NEXT) | instid1(SALU_CYCLE_1)
	s_or_b32 s1, s0, s1
	s_and_not1_b32 exec_lo, exec_lo, s1
	s_cbranch_execnz .LBB5_107
.LBB5_108:
	s_or_b32 exec_lo, exec_lo, s5
	s_waitcnt lgkmcnt(0)
	ds_bpermute_b32 v19, v30, v21
	s_and_saveexec_b32 s5, vcc_lo
	s_cbranch_execz .LBB5_112
; %bb.109:
	v_or3_b32 v17, v46, v47, 8
	v_cmp_gt_i32_e64 s1, s17, v29
	s_delay_alu instid0(VALU_DEP_2) | instskip(NEXT) | instid1(VALU_DEP_1)
	v_cmp_gt_i32_e64 s0, s16, v17
	s_and_b32 s0, s0, s1
	s_delay_alu instid0(SALU_CYCLE_1)
	s_and_b32 exec_lo, exec_lo, s0
	s_cbranch_execz .LBB5_112
; %bb.110:
	v_mul_lo_u32 v17, v17, s17
	s_ashr_i32 s0, s14, 31
	v_add_co_u32 v25, s1, s14, v45
	s_delay_alu instid0(VALU_DEP_1)
	v_add_co_ci_u32_e64 v26, null, s0, 0, s1
	v_cvt_f16_f32_e32 v21, v21
	s_waitcnt lgkmcnt(0)
	v_cvt_f16_f32_e32 v19, v19
	v_ashrrev_i32_e32 v18, 31, v17
	v_lshlrev_b64 v[25:26], 1, v[25:26]
	s_mov_b32 s1, 0
	s_delay_alu instid0(VALU_DEP_3) | instskip(NEXT) | instid1(VALU_DEP_3)
	v_pack_b32_f16 v21, v21, v19
	v_lshlrev_b64 v[17:18], 1, v[17:18]
	s_delay_alu instid0(VALU_DEP_1) | instskip(NEXT) | instid1(VALU_DEP_1)
	v_add_co_u32 v17, s0, s2, v17
	v_add_co_ci_u32_e64 v18, s0, s3, v18, s0
	s_delay_alu instid0(VALU_DEP_2) | instskip(NEXT) | instid1(VALU_DEP_1)
	v_add_co_u32 v17, s0, v17, v25
	v_add_co_ci_u32_e64 v18, s0, v18, v26, s0
	global_load_b32 v20, v[17:18], off offset:32
.LBB5_111:                              ; =>This Inner Loop Header: Depth=1
	s_waitcnt vmcnt(0)
	v_pk_add_f16 v19, v21, v20
	global_atomic_cmpswap_b32 v19, v[17:18], v[19:20], off offset:32 glc
	s_waitcnt vmcnt(0)
	v_cmp_eq_u32_e64 s0, v19, v20
	v_mov_b32_e32 v20, v19
	s_delay_alu instid0(VALU_DEP_2) | instskip(NEXT) | instid1(SALU_CYCLE_1)
	s_or_b32 s1, s0, s1
	s_and_not1_b32 exec_lo, exec_lo, s1
	s_cbranch_execnz .LBB5_111
.LBB5_112:
	s_or_b32 exec_lo, exec_lo, s5
	s_waitcnt lgkmcnt(0)
	ds_bpermute_b32 v19, v30, v22
	s_and_saveexec_b32 s5, vcc_lo
	s_cbranch_execz .LBB5_116
; %bb.113:
	v_or3_b32 v17, v46, v47, 10
	v_cmp_gt_i32_e64 s1, s17, v29
	s_delay_alu instid0(VALU_DEP_2) | instskip(NEXT) | instid1(VALU_DEP_1)
	v_cmp_gt_i32_e64 s0, s16, v17
	s_and_b32 s0, s0, s1
	s_delay_alu instid0(SALU_CYCLE_1)
	s_and_b32 exec_lo, exec_lo, s0
	s_cbranch_execz .LBB5_116
; %bb.114:
	v_mul_lo_u32 v17, v17, s17
	s_ashr_i32 s0, s14, 31
	v_add_co_u32 v20, s1, s14, v45
	s_delay_alu instid0(VALU_DEP_1) | instskip(SKIP_3) | instid1(VALU_DEP_4)
	v_add_co_ci_u32_e64 v21, null, s0, 0, s1
	s_waitcnt lgkmcnt(0)
	v_cvt_f16_f32_e32 v19, v19
	s_mov_b32 s1, 0
	v_ashrrev_i32_e32 v18, 31, v17
	v_lshlrev_b64 v[20:21], 1, v[20:21]
	s_delay_alu instid0(VALU_DEP_2) | instskip(NEXT) | instid1(VALU_DEP_1)
	v_lshlrev_b64 v[17:18], 1, v[17:18]
	v_add_co_u32 v17, s0, s2, v17
	s_delay_alu instid0(VALU_DEP_1) | instskip(NEXT) | instid1(VALU_DEP_2)
	v_add_co_ci_u32_e64 v18, s0, s3, v18, s0
	v_add_co_u32 v17, s0, v17, v20
	s_delay_alu instid0(VALU_DEP_1)
	v_add_co_ci_u32_e64 v18, s0, v18, v21, s0
	v_cvt_f16_f32_e32 v21, v22
	global_load_b32 v20, v[17:18], off offset:32
	v_pack_b32_f16 v21, v21, v19
.LBB5_115:                              ; =>This Inner Loop Header: Depth=1
	s_waitcnt vmcnt(0)
	s_delay_alu instid0(VALU_DEP_1) | instskip(SKIP_4) | instid1(VALU_DEP_2)
	v_pk_add_f16 v19, v21, v20
	global_atomic_cmpswap_b32 v19, v[17:18], v[19:20], off offset:32 glc
	s_waitcnt vmcnt(0)
	v_cmp_eq_u32_e64 s0, v19, v20
	v_mov_b32_e32 v20, v19
	s_or_b32 s1, s0, s1
	s_delay_alu instid0(SALU_CYCLE_1)
	s_and_not1_b32 exec_lo, exec_lo, s1
	s_cbranch_execnz .LBB5_115
.LBB5_116:
	s_or_b32 exec_lo, exec_lo, s5
	s_waitcnt lgkmcnt(0)
	ds_bpermute_b32 v19, v30, v23
	s_and_saveexec_b32 s5, vcc_lo
	s_cbranch_execz .LBB5_120
; %bb.117:
	v_or3_b32 v17, v46, v47, 12
	v_cmp_gt_i32_e64 s1, s17, v29
	s_delay_alu instid0(VALU_DEP_2) | instskip(NEXT) | instid1(VALU_DEP_1)
	v_cmp_gt_i32_e64 s0, s16, v17
	s_and_b32 s0, s0, s1
	s_delay_alu instid0(SALU_CYCLE_1)
	s_and_b32 exec_lo, exec_lo, s0
	s_cbranch_execz .LBB5_120
; %bb.118:
	v_mul_lo_u32 v17, v17, s17
	s_ashr_i32 s0, s14, 31
	v_add_co_u32 v20, s1, s14, v45
	s_delay_alu instid0(VALU_DEP_1) | instskip(SKIP_3) | instid1(VALU_DEP_4)
	v_add_co_ci_u32_e64 v21, null, s0, 0, s1
	s_waitcnt lgkmcnt(0)
	v_cvt_f16_f32_e32 v19, v19
	s_mov_b32 s1, 0
	v_ashrrev_i32_e32 v18, 31, v17
	v_lshlrev_b64 v[20:21], 1, v[20:21]
	s_delay_alu instid0(VALU_DEP_2) | instskip(NEXT) | instid1(VALU_DEP_1)
	v_lshlrev_b64 v[17:18], 1, v[17:18]
	v_add_co_u32 v17, s0, s2, v17
	s_delay_alu instid0(VALU_DEP_1) | instskip(NEXT) | instid1(VALU_DEP_2)
	v_add_co_ci_u32_e64 v18, s0, s3, v18, s0
	v_add_co_u32 v17, s0, v17, v20
	s_delay_alu instid0(VALU_DEP_1)
	v_add_co_ci_u32_e64 v18, s0, v18, v21, s0
	v_cvt_f16_f32_e32 v21, v23
	global_load_b32 v20, v[17:18], off offset:32
	v_pack_b32_f16 v21, v21, v19
.LBB5_119:                              ; =>This Inner Loop Header: Depth=1
	s_waitcnt vmcnt(0)
	s_delay_alu instid0(VALU_DEP_1) | instskip(SKIP_4) | instid1(VALU_DEP_2)
	v_pk_add_f16 v19, v21, v20
	global_atomic_cmpswap_b32 v19, v[17:18], v[19:20], off offset:32 glc
	s_waitcnt vmcnt(0)
	v_cmp_eq_u32_e64 s0, v19, v20
	v_mov_b32_e32 v20, v19
	s_or_b32 s1, s0, s1
	s_delay_alu instid0(SALU_CYCLE_1)
	s_and_not1_b32 exec_lo, exec_lo, s1
	s_cbranch_execnz .LBB5_119
.LBB5_120:
	s_or_b32 exec_lo, exec_lo, s5
	s_waitcnt lgkmcnt(0)
	ds_bpermute_b32 v19, v30, v24
	s_and_saveexec_b32 s1, vcc_lo
	s_cbranch_execz .LBB5_124
; %bb.121:
	v_or3_b32 v17, v46, v47, 14
	v_cmp_gt_i32_e64 s0, s17, v29
	s_delay_alu instid0(VALU_DEP_2) | instskip(NEXT) | instid1(VALU_DEP_2)
	v_cmp_gt_i32_e32 vcc_lo, s16, v17
	s_and_b32 s0, vcc_lo, s0
	s_delay_alu instid0(SALU_CYCLE_1)
	s_and_b32 exec_lo, exec_lo, s0
	s_cbranch_execz .LBB5_124
; %bb.122:
	v_mul_lo_u32 v17, v17, s17
	s_ashr_i32 s0, s14, 31
	v_add_co_u32 v20, s5, s14, v45
	s_delay_alu instid0(VALU_DEP_1) | instskip(SKIP_3) | instid1(VALU_DEP_4)
	v_add_co_ci_u32_e64 v21, null, s0, 0, s5
	s_waitcnt lgkmcnt(0)
	v_cvt_f16_f32_e32 v19, v19
	s_mov_b32 s0, 0
	v_ashrrev_i32_e32 v18, 31, v17
	v_lshlrev_b64 v[20:21], 1, v[20:21]
	s_delay_alu instid0(VALU_DEP_2) | instskip(NEXT) | instid1(VALU_DEP_1)
	v_lshlrev_b64 v[17:18], 1, v[17:18]
	v_add_co_u32 v17, vcc_lo, s2, v17
	s_delay_alu instid0(VALU_DEP_2) | instskip(NEXT) | instid1(VALU_DEP_2)
	v_add_co_ci_u32_e32 v18, vcc_lo, s3, v18, vcc_lo
	v_add_co_u32 v17, vcc_lo, v17, v20
	s_delay_alu instid0(VALU_DEP_2)
	v_add_co_ci_u32_e32 v18, vcc_lo, v18, v21, vcc_lo
	v_cvt_f16_f32_e32 v21, v24
	global_load_b32 v20, v[17:18], off offset:32
	v_pack_b32_f16 v21, v21, v19
.LBB5_123:                              ; =>This Inner Loop Header: Depth=1
	s_waitcnt vmcnt(0)
	s_delay_alu instid0(VALU_DEP_1)
	v_pk_add_f16 v19, v21, v20
	global_atomic_cmpswap_b32 v19, v[17:18], v[19:20], off offset:32 glc
	s_waitcnt vmcnt(0)
	v_cmp_eq_u32_e32 vcc_lo, v19, v20
	v_mov_b32_e32 v20, v19
	s_or_b32 s0, vcc_lo, s0
	s_delay_alu instid0(SALU_CYCLE_1)
	s_and_not1_b32 exec_lo, exec_lo, s0
	s_cbranch_execnz .LBB5_123
.LBB5_124:
	s_or_b32 exec_lo, exec_lo, s1
	s_or_b32 s0, s14, 32
	s_and_b32 vcc_lo, exec_lo, s4
	s_mov_b32 s1, -1
	s_cbranch_vccz .LBB5_20
.LBB5_125:
	v_or_b32_e32 v17, s0, v45
	s_mov_b32 s1, exec_lo
	s_delay_alu instid0(VALU_DEP_1)
	v_cmpx_gt_i32_e64 s17, v17
	s_cbranch_execz .LBB5_142
; %bb.126:
	v_or_b32_e32 v17, v47, v46
	s_mov_b32 s5, exec_lo
	s_delay_alu instid0(VALU_DEP_1)
	v_cmpx_gt_i32_e64 s16, v17
	s_cbranch_execz .LBB5_128
; %bb.127:
	v_mul_lo_u32 v18, v17, s17
	s_ashr_i32 s6, s14, 31
	v_add_co_u32 v20, s7, s14, v45
	s_delay_alu instid0(VALU_DEP_1) | instskip(SKIP_1) | instid1(VALU_DEP_3)
	v_add_co_ci_u32_e64 v21, null, s6, 0, s7
	s_waitcnt lgkmcnt(0)
	v_ashrrev_i32_e32 v19, 31, v18
	s_delay_alu instid0(VALU_DEP_2) | instskip(NEXT) | instid1(VALU_DEP_2)
	v_lshlrev_b64 v[20:21], 1, v[20:21]
	v_lshlrev_b64 v[18:19], 1, v[18:19]
	s_delay_alu instid0(VALU_DEP_1) | instskip(NEXT) | instid1(VALU_DEP_2)
	v_add_co_u32 v18, vcc_lo, s2, v18
	v_add_co_ci_u32_e32 v19, vcc_lo, s3, v19, vcc_lo
	s_delay_alu instid0(VALU_DEP_2) | instskip(NEXT) | instid1(VALU_DEP_2)
	v_add_co_u32 v18, vcc_lo, v18, v20
	v_add_co_ci_u32_e32 v19, vcc_lo, v19, v21, vcc_lo
	v_cvt_f16_f32_e32 v20, v9
	global_store_b16 v[18:19], v20, off offset:64
.LBB5_128:
	s_or_b32 exec_lo, exec_lo, s5
	v_or_b32_e32 v18, 2, v17
	s_mov_b32 s5, exec_lo
	s_delay_alu instid0(VALU_DEP_1)
	v_cmpx_gt_i32_e64 s16, v18
	s_cbranch_execz .LBB5_130
; %bb.129:
	v_mul_lo_u32 v18, v18, s17
	s_ashr_i32 s6, s14, 31
	v_add_co_u32 v20, s7, s14, v45
	s_delay_alu instid0(VALU_DEP_1) | instskip(SKIP_1) | instid1(VALU_DEP_3)
	v_add_co_ci_u32_e64 v21, null, s6, 0, s7
	s_waitcnt lgkmcnt(0)
	v_ashrrev_i32_e32 v19, 31, v18
	s_delay_alu instid0(VALU_DEP_2) | instskip(NEXT) | instid1(VALU_DEP_2)
	v_lshlrev_b64 v[20:21], 1, v[20:21]
	v_lshlrev_b64 v[18:19], 1, v[18:19]
	s_delay_alu instid0(VALU_DEP_1) | instskip(NEXT) | instid1(VALU_DEP_2)
	v_add_co_u32 v18, vcc_lo, s2, v18
	v_add_co_ci_u32_e32 v19, vcc_lo, s3, v19, vcc_lo
	s_delay_alu instid0(VALU_DEP_2) | instskip(NEXT) | instid1(VALU_DEP_2)
	v_add_co_u32 v18, vcc_lo, v18, v20
	v_add_co_ci_u32_e32 v19, vcc_lo, v19, v21, vcc_lo
	v_cvt_f16_f32_e32 v20, v10
	global_store_b16 v[18:19], v20, off offset:64
.LBB5_130:
	s_or_b32 exec_lo, exec_lo, s5
	;; [unrolled: 26-line block ×7, first 2 shown]
	v_or_b32_e32 v17, 14, v17
	s_delay_alu instid0(VALU_DEP_1)
	v_cmp_gt_i32_e32 vcc_lo, s16, v17
	s_and_b32 exec_lo, exec_lo, vcc_lo
	s_cbranch_execz .LBB5_142
; %bb.141:
	v_mul_lo_u32 v17, v17, s17
	s_ashr_i32 s5, s14, 31
	s_waitcnt lgkmcnt(0)
	v_add_co_u32 v19, s6, s14, v45
	s_delay_alu instid0(VALU_DEP_1) | instskip(NEXT) | instid1(VALU_DEP_3)
	v_add_co_ci_u32_e64 v20, null, s5, 0, s6
	v_ashrrev_i32_e32 v18, 31, v17
	s_delay_alu instid0(VALU_DEP_2) | instskip(NEXT) | instid1(VALU_DEP_2)
	v_lshlrev_b64 v[19:20], 1, v[19:20]
	v_lshlrev_b64 v[17:18], 1, v[17:18]
	s_delay_alu instid0(VALU_DEP_1) | instskip(NEXT) | instid1(VALU_DEP_2)
	v_add_co_u32 v17, vcc_lo, s2, v17
	v_add_co_ci_u32_e32 v18, vcc_lo, s3, v18, vcc_lo
	s_delay_alu instid0(VALU_DEP_2) | instskip(NEXT) | instid1(VALU_DEP_2)
	v_add_co_u32 v17, vcc_lo, v17, v19
	v_add_co_ci_u32_e32 v18, vcc_lo, v18, v20, vcc_lo
	v_cvt_f16_f32_e32 v19, v16
	global_store_b16 v[17:18], v19, off offset:64
.LBB5_142:
	s_or_b32 exec_lo, exec_lo, s1
	s_cbranch_execnz .LBB5_21
.LBB5_143:
	v_mbcnt_lo_u32_b32 v17, -1, 0
	v_or_b32_e32 v21, s0, v45
	s_delay_alu instid0(VALU_DEP_2) | instskip(NEXT) | instid1(VALU_DEP_1)
	v_xor_b32_e32 v18, 1, v17
	v_cmp_gt_i32_e32 vcc_lo, 32, v18
	v_cndmask_b32_e32 v17, v17, v18, vcc_lo
	s_delay_alu instid0(VALU_DEP_1)
	v_lshlrev_b32_e32 v22, 2, v17
	v_and_b32_e32 v17, 1, v0
	s_waitcnt lgkmcnt(0)
	ds_bpermute_b32 v19, v22, v9
	v_cmp_eq_u32_e32 vcc_lo, 0, v17
	s_and_saveexec_b32 s5, vcc_lo
	s_cbranch_execz .LBB5_147
; %bb.144:
	v_or_b32_e32 v17, v47, v46
	v_cmp_gt_i32_e64 s1, s17, v21
	s_delay_alu instid0(VALU_DEP_2) | instskip(NEXT) | instid1(VALU_DEP_1)
	v_cmp_gt_i32_e64 s0, s16, v17
	s_and_b32 s0, s0, s1
	s_delay_alu instid0(SALU_CYCLE_1)
	s_and_b32 exec_lo, exec_lo, s0
	s_cbranch_execz .LBB5_147
; %bb.145:
	v_mul_lo_u32 v17, v17, s17
	s_ashr_i32 s0, s14, 31
	v_add_co_u32 v23, s1, s14, v45
	s_delay_alu instid0(VALU_DEP_1)
	v_add_co_ci_u32_e64 v24, null, s0, 0, s1
	v_cvt_f16_f32_e32 v9, v9
	s_waitcnt lgkmcnt(0)
	v_cvt_f16_f32_e32 v19, v19
	v_ashrrev_i32_e32 v18, 31, v17
	v_lshlrev_b64 v[23:24], 1, v[23:24]
	s_mov_b32 s1, 0
	s_delay_alu instid0(VALU_DEP_3) | instskip(NEXT) | instid1(VALU_DEP_3)
	v_pack_b32_f16 v9, v9, v19
	v_lshlrev_b64 v[17:18], 1, v[17:18]
	s_delay_alu instid0(VALU_DEP_1) | instskip(NEXT) | instid1(VALU_DEP_1)
	v_add_co_u32 v17, s0, s2, v17
	v_add_co_ci_u32_e64 v18, s0, s3, v18, s0
	s_delay_alu instid0(VALU_DEP_2) | instskip(NEXT) | instid1(VALU_DEP_1)
	v_add_co_u32 v17, s0, v17, v23
	v_add_co_ci_u32_e64 v18, s0, v18, v24, s0
	global_load_b32 v20, v[17:18], off offset:64
.LBB5_146:                              ; =>This Inner Loop Header: Depth=1
	s_waitcnt vmcnt(0)
	v_pk_add_f16 v19, v9, v20
	global_atomic_cmpswap_b32 v19, v[17:18], v[19:20], off offset:64 glc
	s_waitcnt vmcnt(0)
	v_cmp_eq_u32_e64 s0, v19, v20
	v_mov_b32_e32 v20, v19
	s_delay_alu instid0(VALU_DEP_2) | instskip(NEXT) | instid1(SALU_CYCLE_1)
	s_or_b32 s1, s0, s1
	s_and_not1_b32 exec_lo, exec_lo, s1
	s_cbranch_execnz .LBB5_146
.LBB5_147:
	s_or_b32 exec_lo, exec_lo, s5
	ds_bpermute_b32 v9, v22, v10
	s_and_saveexec_b32 s5, vcc_lo
	s_cbranch_execz .LBB5_151
; %bb.148:
	v_or3_b32 v17, v46, v47, 2
	v_cmp_gt_i32_e64 s1, s17, v21
	s_delay_alu instid0(VALU_DEP_2) | instskip(NEXT) | instid1(VALU_DEP_1)
	v_cmp_gt_i32_e64 s0, s16, v17
	s_and_b32 s0, s0, s1
	s_delay_alu instid0(SALU_CYCLE_1)
	s_and_b32 exec_lo, exec_lo, s0
	s_cbranch_execz .LBB5_151
; %bb.149:
	v_mul_lo_u32 v17, v17, s17
	s_ashr_i32 s0, s14, 31
	s_waitcnt lgkmcnt(1)
	v_add_co_u32 v19, s1, s14, v45
	s_delay_alu instid0(VALU_DEP_1)
	v_add_co_ci_u32_e64 v20, null, s0, 0, s1
	v_cvt_f16_f32_e32 v10, v10
	s_waitcnt lgkmcnt(0)
	v_cvt_f16_f32_e32 v9, v9
	v_ashrrev_i32_e32 v18, 31, v17
	v_lshlrev_b64 v[19:20], 1, v[19:20]
	s_mov_b32 s1, 0
	s_delay_alu instid0(VALU_DEP_3) | instskip(NEXT) | instid1(VALU_DEP_3)
	v_pack_b32_f16 v9, v10, v9
	v_lshlrev_b64 v[17:18], 1, v[17:18]
	s_delay_alu instid0(VALU_DEP_1) | instskip(NEXT) | instid1(VALU_DEP_1)
	v_add_co_u32 v17, s0, s2, v17
	v_add_co_ci_u32_e64 v18, s0, s3, v18, s0
	s_delay_alu instid0(VALU_DEP_2) | instskip(NEXT) | instid1(VALU_DEP_1)
	v_add_co_u32 v17, s0, v17, v19
	v_add_co_ci_u32_e64 v18, s0, v18, v20, s0
	global_load_b32 v20, v[17:18], off offset:64
.LBB5_150:                              ; =>This Inner Loop Header: Depth=1
	s_waitcnt vmcnt(0)
	v_pk_add_f16 v19, v9, v20
	global_atomic_cmpswap_b32 v10, v[17:18], v[19:20], off offset:64 glc
	s_waitcnt vmcnt(0)
	v_cmp_eq_u32_e64 s0, v10, v20
	v_mov_b32_e32 v20, v10
	s_delay_alu instid0(VALU_DEP_2) | instskip(NEXT) | instid1(SALU_CYCLE_1)
	s_or_b32 s1, s0, s1
	s_and_not1_b32 exec_lo, exec_lo, s1
	s_cbranch_execnz .LBB5_150
.LBB5_151:
	s_or_b32 exec_lo, exec_lo, s5
	ds_bpermute_b32 v17, v22, v11
	s_and_saveexec_b32 s5, vcc_lo
	s_cbranch_execz .LBB5_155
; %bb.152:
	s_waitcnt lgkmcnt(1)
	v_or3_b32 v9, v46, v47, 4
	v_cmp_gt_i32_e64 s1, s17, v21
	s_delay_alu instid0(VALU_DEP_2) | instskip(NEXT) | instid1(VALU_DEP_1)
	v_cmp_gt_i32_e64 s0, s16, v9
	s_and_b32 s0, s0, s1
	s_delay_alu instid0(SALU_CYCLE_1)
	s_and_b32 exec_lo, exec_lo, s0
	s_cbranch_execz .LBB5_155
; %bb.153:
	v_mul_lo_u32 v9, v9, s17
	s_ashr_i32 s0, s14, 31
	v_add_co_u32 v18, s1, s14, v45
	s_delay_alu instid0(VALU_DEP_1)
	v_add_co_ci_u32_e64 v19, null, s0, 0, s1
	v_cvt_f16_f32_e32 v11, v11
	s_waitcnt lgkmcnt(0)
	v_cvt_f16_f32_e32 v17, v17
	v_ashrrev_i32_e32 v10, 31, v9
	v_lshlrev_b64 v[18:19], 1, v[18:19]
	s_mov_b32 s1, 0
	s_delay_alu instid0(VALU_DEP_3) | instskip(NEXT) | instid1(VALU_DEP_3)
	v_pack_b32_f16 v11, v11, v17
	v_lshlrev_b64 v[9:10], 1, v[9:10]
	s_delay_alu instid0(VALU_DEP_1) | instskip(NEXT) | instid1(VALU_DEP_1)
	v_add_co_u32 v9, s0, s2, v9
	v_add_co_ci_u32_e64 v10, s0, s3, v10, s0
	s_delay_alu instid0(VALU_DEP_2) | instskip(NEXT) | instid1(VALU_DEP_1)
	v_add_co_u32 v9, s0, v9, v18
	v_add_co_ci_u32_e64 v10, s0, v10, v19, s0
	global_load_b32 v18, v[9:10], off offset:64
.LBB5_154:                              ; =>This Inner Loop Header: Depth=1
	s_waitcnt vmcnt(0)
	v_pk_add_f16 v17, v11, v18
	global_atomic_cmpswap_b32 v17, v[9:10], v[17:18], off offset:64 glc
	s_waitcnt vmcnt(0)
	v_cmp_eq_u32_e64 s0, v17, v18
	v_mov_b32_e32 v18, v17
	s_delay_alu instid0(VALU_DEP_2) | instskip(NEXT) | instid1(SALU_CYCLE_1)
	s_or_b32 s1, s0, s1
	s_and_not1_b32 exec_lo, exec_lo, s1
	s_cbranch_execnz .LBB5_154
.LBB5_155:
	s_or_b32 exec_lo, exec_lo, s5
	ds_bpermute_b32 v11, v22, v12
	s_and_saveexec_b32 s5, vcc_lo
	s_cbranch_execz .LBB5_159
; %bb.156:
	s_waitcnt lgkmcnt(2)
	v_or3_b32 v9, v46, v47, 6
	v_cmp_gt_i32_e64 s1, s17, v21
	s_delay_alu instid0(VALU_DEP_2) | instskip(NEXT) | instid1(VALU_DEP_1)
	v_cmp_gt_i32_e64 s0, s16, v9
	s_and_b32 s0, s0, s1
	s_delay_alu instid0(SALU_CYCLE_1)
	s_and_b32 exec_lo, exec_lo, s0
	s_cbranch_execz .LBB5_159
; %bb.157:
	v_mul_lo_u32 v9, v9, s17
	s_ashr_i32 s0, s14, 31
	s_waitcnt lgkmcnt(1)
	v_add_co_u32 v17, s1, s14, v45
	s_delay_alu instid0(VALU_DEP_1)
	v_add_co_ci_u32_e64 v18, null, s0, 0, s1
	v_cvt_f16_f32_e32 v12, v12
	s_waitcnt lgkmcnt(0)
	v_cvt_f16_f32_e32 v11, v11
	v_ashrrev_i32_e32 v10, 31, v9
	v_lshlrev_b64 v[17:18], 1, v[17:18]
	s_mov_b32 s1, 0
	s_delay_alu instid0(VALU_DEP_3) | instskip(NEXT) | instid1(VALU_DEP_3)
	v_pack_b32_f16 v11, v12, v11
	v_lshlrev_b64 v[9:10], 1, v[9:10]
	s_delay_alu instid0(VALU_DEP_1) | instskip(NEXT) | instid1(VALU_DEP_1)
	v_add_co_u32 v9, s0, s2, v9
	v_add_co_ci_u32_e64 v10, s0, s3, v10, s0
	s_delay_alu instid0(VALU_DEP_2) | instskip(NEXT) | instid1(VALU_DEP_1)
	v_add_co_u32 v9, s0, v9, v17
	v_add_co_ci_u32_e64 v10, s0, v10, v18, s0
	global_load_b32 v18, v[9:10], off offset:64
.LBB5_158:                              ; =>This Inner Loop Header: Depth=1
	s_waitcnt vmcnt(0)
	v_pk_add_f16 v17, v11, v18
	global_atomic_cmpswap_b32 v12, v[9:10], v[17:18], off offset:64 glc
	s_waitcnt vmcnt(0)
	v_cmp_eq_u32_e64 s0, v12, v18
	v_mov_b32_e32 v18, v12
	s_delay_alu instid0(VALU_DEP_2) | instskip(NEXT) | instid1(SALU_CYCLE_1)
	s_or_b32 s1, s0, s1
	s_and_not1_b32 exec_lo, exec_lo, s1
	s_cbranch_execnz .LBB5_158
.LBB5_159:
	s_or_b32 exec_lo, exec_lo, s5
	s_waitcnt lgkmcnt(0)
	ds_bpermute_b32 v11, v22, v13
	s_and_saveexec_b32 s5, vcc_lo
	s_cbranch_execz .LBB5_163
; %bb.160:
	v_or3_b32 v9, v46, v47, 8
	v_cmp_gt_i32_e64 s1, s17, v21
	s_delay_alu instid0(VALU_DEP_2) | instskip(NEXT) | instid1(VALU_DEP_1)
	v_cmp_gt_i32_e64 s0, s16, v9
	s_and_b32 s0, s0, s1
	s_delay_alu instid0(SALU_CYCLE_1)
	s_and_b32 exec_lo, exec_lo, s0
	s_cbranch_execz .LBB5_163
; %bb.161:
	v_mul_lo_u32 v9, v9, s17
	s_ashr_i32 s0, s14, 31
	v_add_co_u32 v17, s1, s14, v45
	s_delay_alu instid0(VALU_DEP_1)
	v_add_co_ci_u32_e64 v18, null, s0, 0, s1
	v_cvt_f16_f32_e32 v13, v13
	s_waitcnt lgkmcnt(0)
	v_cvt_f16_f32_e32 v11, v11
	v_ashrrev_i32_e32 v10, 31, v9
	v_lshlrev_b64 v[17:18], 1, v[17:18]
	s_mov_b32 s1, 0
	s_delay_alu instid0(VALU_DEP_3) | instskip(NEXT) | instid1(VALU_DEP_3)
	v_pack_b32_f16 v13, v13, v11
	v_lshlrev_b64 v[9:10], 1, v[9:10]
	s_delay_alu instid0(VALU_DEP_1) | instskip(NEXT) | instid1(VALU_DEP_1)
	v_add_co_u32 v9, s0, s2, v9
	v_add_co_ci_u32_e64 v10, s0, s3, v10, s0
	s_delay_alu instid0(VALU_DEP_2) | instskip(NEXT) | instid1(VALU_DEP_1)
	v_add_co_u32 v9, s0, v9, v17
	v_add_co_ci_u32_e64 v10, s0, v10, v18, s0
	global_load_b32 v12, v[9:10], off offset:64
.LBB5_162:                              ; =>This Inner Loop Header: Depth=1
	s_waitcnt vmcnt(0)
	v_pk_add_f16 v11, v13, v12
	global_atomic_cmpswap_b32 v11, v[9:10], v[11:12], off offset:64 glc
	s_waitcnt vmcnt(0)
	v_cmp_eq_u32_e64 s0, v11, v12
	v_mov_b32_e32 v12, v11
	s_delay_alu instid0(VALU_DEP_2) | instskip(NEXT) | instid1(SALU_CYCLE_1)
	s_or_b32 s1, s0, s1
	s_and_not1_b32 exec_lo, exec_lo, s1
	s_cbranch_execnz .LBB5_162
.LBB5_163:
	s_or_b32 exec_lo, exec_lo, s5
	s_waitcnt lgkmcnt(0)
	ds_bpermute_b32 v11, v22, v14
	s_and_saveexec_b32 s5, vcc_lo
	s_cbranch_execz .LBB5_167
; %bb.164:
	v_or3_b32 v9, v46, v47, 10
	v_cmp_gt_i32_e64 s1, s17, v21
	s_delay_alu instid0(VALU_DEP_2) | instskip(NEXT) | instid1(VALU_DEP_1)
	v_cmp_gt_i32_e64 s0, s16, v9
	s_and_b32 s0, s0, s1
	s_delay_alu instid0(SALU_CYCLE_1)
	s_and_b32 exec_lo, exec_lo, s0
	s_cbranch_execz .LBB5_167
; %bb.165:
	v_mul_lo_u32 v9, v9, s17
	s_ashr_i32 s0, s14, 31
	v_add_co_u32 v12, s1, s14, v45
	s_delay_alu instid0(VALU_DEP_1) | instskip(SKIP_3) | instid1(VALU_DEP_4)
	v_add_co_ci_u32_e64 v13, null, s0, 0, s1
	s_waitcnt lgkmcnt(0)
	v_cvt_f16_f32_e32 v11, v11
	s_mov_b32 s1, 0
	v_ashrrev_i32_e32 v10, 31, v9
	v_lshlrev_b64 v[12:13], 1, v[12:13]
	s_delay_alu instid0(VALU_DEP_2) | instskip(NEXT) | instid1(VALU_DEP_1)
	v_lshlrev_b64 v[9:10], 1, v[9:10]
	v_add_co_u32 v9, s0, s2, v9
	s_delay_alu instid0(VALU_DEP_1) | instskip(NEXT) | instid1(VALU_DEP_2)
	v_add_co_ci_u32_e64 v10, s0, s3, v10, s0
	v_add_co_u32 v9, s0, v9, v12
	s_delay_alu instid0(VALU_DEP_1)
	v_add_co_ci_u32_e64 v10, s0, v10, v13, s0
	v_cvt_f16_f32_e32 v13, v14
	global_load_b32 v12, v[9:10], off offset:64
	v_pack_b32_f16 v13, v13, v11
.LBB5_166:                              ; =>This Inner Loop Header: Depth=1
	s_waitcnt vmcnt(0)
	s_delay_alu instid0(VALU_DEP_1) | instskip(SKIP_4) | instid1(VALU_DEP_2)
	v_pk_add_f16 v11, v13, v12
	global_atomic_cmpswap_b32 v11, v[9:10], v[11:12], off offset:64 glc
	s_waitcnt vmcnt(0)
	v_cmp_eq_u32_e64 s0, v11, v12
	v_mov_b32_e32 v12, v11
	s_or_b32 s1, s0, s1
	s_delay_alu instid0(SALU_CYCLE_1)
	s_and_not1_b32 exec_lo, exec_lo, s1
	s_cbranch_execnz .LBB5_166
.LBB5_167:
	s_or_b32 exec_lo, exec_lo, s5
	s_waitcnt lgkmcnt(0)
	ds_bpermute_b32 v11, v22, v15
	s_and_saveexec_b32 s5, vcc_lo
	s_cbranch_execz .LBB5_171
; %bb.168:
	v_or3_b32 v9, v46, v47, 12
	v_cmp_gt_i32_e64 s1, s17, v21
	s_delay_alu instid0(VALU_DEP_2) | instskip(NEXT) | instid1(VALU_DEP_1)
	v_cmp_gt_i32_e64 s0, s16, v9
	s_and_b32 s0, s0, s1
	s_delay_alu instid0(SALU_CYCLE_1)
	s_and_b32 exec_lo, exec_lo, s0
	s_cbranch_execz .LBB5_171
; %bb.169:
	v_mul_lo_u32 v9, v9, s17
	s_ashr_i32 s0, s14, 31
	v_add_co_u32 v12, s1, s14, v45
	s_delay_alu instid0(VALU_DEP_1) | instskip(SKIP_3) | instid1(VALU_DEP_4)
	v_add_co_ci_u32_e64 v13, null, s0, 0, s1
	s_waitcnt lgkmcnt(0)
	v_cvt_f16_f32_e32 v11, v11
	s_mov_b32 s1, 0
	v_ashrrev_i32_e32 v10, 31, v9
	v_lshlrev_b64 v[12:13], 1, v[12:13]
	s_delay_alu instid0(VALU_DEP_2) | instskip(NEXT) | instid1(VALU_DEP_1)
	v_lshlrev_b64 v[9:10], 1, v[9:10]
	v_add_co_u32 v9, s0, s2, v9
	s_delay_alu instid0(VALU_DEP_1) | instskip(NEXT) | instid1(VALU_DEP_2)
	v_add_co_ci_u32_e64 v10, s0, s3, v10, s0
	v_add_co_u32 v9, s0, v9, v12
	s_delay_alu instid0(VALU_DEP_1)
	v_add_co_ci_u32_e64 v10, s0, v10, v13, s0
	v_cvt_f16_f32_e32 v13, v15
	global_load_b32 v12, v[9:10], off offset:64
	v_pack_b32_f16 v13, v13, v11
.LBB5_170:                              ; =>This Inner Loop Header: Depth=1
	s_waitcnt vmcnt(0)
	s_delay_alu instid0(VALU_DEP_1) | instskip(SKIP_4) | instid1(VALU_DEP_2)
	v_pk_add_f16 v11, v13, v12
	global_atomic_cmpswap_b32 v11, v[9:10], v[11:12], off offset:64 glc
	s_waitcnt vmcnt(0)
	v_cmp_eq_u32_e64 s0, v11, v12
	v_mov_b32_e32 v12, v11
	s_or_b32 s1, s0, s1
	s_delay_alu instid0(SALU_CYCLE_1)
	s_and_not1_b32 exec_lo, exec_lo, s1
	s_cbranch_execnz .LBB5_170
.LBB5_171:
	s_or_b32 exec_lo, exec_lo, s5
	s_waitcnt lgkmcnt(0)
	ds_bpermute_b32 v11, v22, v16
	s_and_saveexec_b32 s1, vcc_lo
	s_cbranch_execz .LBB5_175
; %bb.172:
	v_or3_b32 v9, v46, v47, 14
	v_cmp_gt_i32_e64 s0, s17, v21
	s_delay_alu instid0(VALU_DEP_2) | instskip(NEXT) | instid1(VALU_DEP_2)
	v_cmp_gt_i32_e32 vcc_lo, s16, v9
	s_and_b32 s0, vcc_lo, s0
	s_delay_alu instid0(SALU_CYCLE_1)
	s_and_b32 exec_lo, exec_lo, s0
	s_cbranch_execz .LBB5_175
; %bb.173:
	v_mul_lo_u32 v9, v9, s17
	s_ashr_i32 s0, s14, 31
	v_add_co_u32 v12, s5, s14, v45
	s_delay_alu instid0(VALU_DEP_1) | instskip(SKIP_3) | instid1(VALU_DEP_4)
	v_add_co_ci_u32_e64 v13, null, s0, 0, s5
	s_waitcnt lgkmcnt(0)
	v_cvt_f16_f32_e32 v11, v11
	s_mov_b32 s0, 0
	v_ashrrev_i32_e32 v10, 31, v9
	v_lshlrev_b64 v[12:13], 1, v[12:13]
	s_delay_alu instid0(VALU_DEP_2) | instskip(NEXT) | instid1(VALU_DEP_1)
	v_lshlrev_b64 v[9:10], 1, v[9:10]
	v_add_co_u32 v9, vcc_lo, s2, v9
	s_delay_alu instid0(VALU_DEP_2) | instskip(NEXT) | instid1(VALU_DEP_2)
	v_add_co_ci_u32_e32 v10, vcc_lo, s3, v10, vcc_lo
	v_add_co_u32 v9, vcc_lo, v9, v12
	s_delay_alu instid0(VALU_DEP_2)
	v_add_co_ci_u32_e32 v10, vcc_lo, v10, v13, vcc_lo
	v_cvt_f16_f32_e32 v13, v16
	global_load_b32 v12, v[9:10], off offset:64
	v_pack_b32_f16 v13, v13, v11
.LBB5_174:                              ; =>This Inner Loop Header: Depth=1
	s_waitcnt vmcnt(0)
	s_delay_alu instid0(VALU_DEP_1)
	v_pk_add_f16 v11, v13, v12
	global_atomic_cmpswap_b32 v11, v[9:10], v[11:12], off offset:64 glc
	s_waitcnt vmcnt(0)
	v_cmp_eq_u32_e32 vcc_lo, v11, v12
	v_mov_b32_e32 v12, v11
	s_or_b32 s0, vcc_lo, s0
	s_delay_alu instid0(SALU_CYCLE_1)
	s_and_not1_b32 exec_lo, exec_lo, s0
	s_cbranch_execnz .LBB5_174
.LBB5_175:
	s_or_b32 exec_lo, exec_lo, s1
	s_or_b32 s0, s14, 48
	s_and_b32 vcc_lo, exec_lo, s4
	s_mov_b32 s1, -1
	s_cbranch_vccz .LBB5_22
.LBB5_176:
	v_or_b32_e32 v9, s0, v45
	s_mov_b32 s1, exec_lo
	s_delay_alu instid0(VALU_DEP_1)
	v_cmpx_gt_i32_e64 s17, v9
	s_cbranch_execz .LBB5_193
; %bb.177:
	v_or_b32_e32 v9, v47, v46
	s_mov_b32 s4, exec_lo
	s_delay_alu instid0(VALU_DEP_1)
	v_cmpx_gt_i32_e64 s16, v9
	s_cbranch_execz .LBB5_179
; %bb.178:
	v_mul_lo_u32 v10, v9, s17
	s_ashr_i32 s5, s14, 31
	v_add_co_u32 v12, s6, s14, v45
	s_delay_alu instid0(VALU_DEP_1) | instskip(SKIP_1) | instid1(VALU_DEP_3)
	v_add_co_ci_u32_e64 v13, null, s5, 0, s6
	s_waitcnt lgkmcnt(0)
	v_ashrrev_i32_e32 v11, 31, v10
	s_delay_alu instid0(VALU_DEP_2) | instskip(NEXT) | instid1(VALU_DEP_2)
	v_lshlrev_b64 v[12:13], 1, v[12:13]
	v_lshlrev_b64 v[10:11], 1, v[10:11]
	s_delay_alu instid0(VALU_DEP_1) | instskip(NEXT) | instid1(VALU_DEP_2)
	v_add_co_u32 v10, vcc_lo, s2, v10
	v_add_co_ci_u32_e32 v11, vcc_lo, s3, v11, vcc_lo
	s_delay_alu instid0(VALU_DEP_2) | instskip(NEXT) | instid1(VALU_DEP_2)
	v_add_co_u32 v10, vcc_lo, v10, v12
	v_add_co_ci_u32_e32 v11, vcc_lo, v11, v13, vcc_lo
	v_cvt_f16_f32_e32 v12, v1
	global_store_b16 v[10:11], v12, off offset:96
.LBB5_179:
	s_or_b32 exec_lo, exec_lo, s4
	v_or_b32_e32 v10, 2, v9
	s_mov_b32 s4, exec_lo
	s_delay_alu instid0(VALU_DEP_1)
	v_cmpx_gt_i32_e64 s16, v10
	s_cbranch_execz .LBB5_181
; %bb.180:
	v_mul_lo_u32 v10, v10, s17
	s_ashr_i32 s5, s14, 31
	v_add_co_u32 v12, s6, s14, v45
	s_delay_alu instid0(VALU_DEP_1) | instskip(SKIP_1) | instid1(VALU_DEP_3)
	v_add_co_ci_u32_e64 v13, null, s5, 0, s6
	s_waitcnt lgkmcnt(0)
	v_ashrrev_i32_e32 v11, 31, v10
	s_delay_alu instid0(VALU_DEP_2) | instskip(NEXT) | instid1(VALU_DEP_2)
	v_lshlrev_b64 v[12:13], 1, v[12:13]
	v_lshlrev_b64 v[10:11], 1, v[10:11]
	s_delay_alu instid0(VALU_DEP_1) | instskip(NEXT) | instid1(VALU_DEP_2)
	v_add_co_u32 v10, vcc_lo, s2, v10
	v_add_co_ci_u32_e32 v11, vcc_lo, s3, v11, vcc_lo
	s_delay_alu instid0(VALU_DEP_2) | instskip(NEXT) | instid1(VALU_DEP_2)
	v_add_co_u32 v10, vcc_lo, v10, v12
	v_add_co_ci_u32_e32 v11, vcc_lo, v11, v13, vcc_lo
	v_cvt_f16_f32_e32 v12, v2
	global_store_b16 v[10:11], v12, off offset:96
.LBB5_181:
	s_or_b32 exec_lo, exec_lo, s4
	;; [unrolled: 26-line block ×7, first 2 shown]
	v_or_b32_e32 v9, 14, v9
	s_delay_alu instid0(VALU_DEP_1)
	v_cmp_gt_i32_e32 vcc_lo, s16, v9
	s_and_b32 exec_lo, exec_lo, vcc_lo
	s_cbranch_execz .LBB5_193
; %bb.192:
	v_mul_lo_u32 v9, v9, s17
	s_ashr_i32 s4, s14, 31
	s_waitcnt lgkmcnt(0)
	v_add_co_u32 v11, s5, s14, v45
	s_delay_alu instid0(VALU_DEP_1) | instskip(NEXT) | instid1(VALU_DEP_3)
	v_add_co_ci_u32_e64 v12, null, s4, 0, s5
	v_ashrrev_i32_e32 v10, 31, v9
	s_delay_alu instid0(VALU_DEP_2) | instskip(NEXT) | instid1(VALU_DEP_2)
	v_lshlrev_b64 v[11:12], 1, v[11:12]
	v_lshlrev_b64 v[9:10], 1, v[9:10]
	s_delay_alu instid0(VALU_DEP_1) | instskip(NEXT) | instid1(VALU_DEP_2)
	v_add_co_u32 v9, vcc_lo, s2, v9
	v_add_co_ci_u32_e32 v10, vcc_lo, s3, v10, vcc_lo
	s_delay_alu instid0(VALU_DEP_2) | instskip(NEXT) | instid1(VALU_DEP_2)
	v_add_co_u32 v9, vcc_lo, v9, v11
	v_add_co_ci_u32_e32 v10, vcc_lo, v10, v12, vcc_lo
	v_cvt_f16_f32_e32 v11, v8
	global_store_b16 v[9:10], v11, off offset:96
.LBB5_193:
	s_or_b32 exec_lo, exec_lo, s1
	s_cbranch_execnz .LBB5_226
.LBB5_194:
	v_mbcnt_lo_u32_b32 v9, -1, 0
	v_or_b32_e32 v13, s0, v45
	v_and_b32_e32 v0, 1, v0
	s_delay_alu instid0(VALU_DEP_3) | instskip(NEXT) | instid1(VALU_DEP_1)
	v_xor_b32_e32 v10, 1, v9
	v_cmp_gt_i32_e32 vcc_lo, 32, v10
	v_cndmask_b32_e32 v9, v9, v10, vcc_lo
	s_delay_alu instid0(VALU_DEP_4) | instskip(NEXT) | instid1(VALU_DEP_2)
	v_cmp_eq_u32_e32 vcc_lo, 0, v0
	v_lshlrev_b32_e32 v14, 2, v9
	s_waitcnt lgkmcnt(0)
	ds_bpermute_b32 v11, v14, v1
	s_and_saveexec_b32 s4, vcc_lo
	s_cbranch_execz .LBB5_198
; %bb.195:
	v_or_b32_e32 v0, v47, v46
	v_cmp_gt_i32_e64 s1, s17, v13
	s_delay_alu instid0(VALU_DEP_2) | instskip(NEXT) | instid1(VALU_DEP_1)
	v_cmp_gt_i32_e64 s0, s16, v0
	s_and_b32 s0, s0, s1
	s_delay_alu instid0(SALU_CYCLE_1)
	s_and_b32 exec_lo, exec_lo, s0
	s_cbranch_execz .LBB5_198
; %bb.196:
	v_mul_lo_u32 v9, v0, s17
	s_ashr_i32 s0, s14, 31
	v_add_co_u32 v15, s1, s14, v45
	s_delay_alu instid0(VALU_DEP_1) | instskip(SKIP_1) | instid1(VALU_DEP_3)
	v_add_co_ci_u32_e64 v16, null, s0, 0, s1
	s_mov_b32 s1, 0
	v_ashrrev_i32_e32 v10, 31, v9
	s_delay_alu instid0(VALU_DEP_2) | instskip(NEXT) | instid1(VALU_DEP_2)
	v_lshlrev_b64 v[15:16], 1, v[15:16]
	v_lshlrev_b64 v[9:10], 1, v[9:10]
	s_delay_alu instid0(VALU_DEP_1) | instskip(NEXT) | instid1(VALU_DEP_1)
	v_add_co_u32 v0, s0, s2, v9
	v_add_co_ci_u32_e64 v10, s0, s3, v10, s0
	s_delay_alu instid0(VALU_DEP_2) | instskip(NEXT) | instid1(VALU_DEP_1)
	v_add_co_u32 v9, s0, v0, v15
	v_add_co_ci_u32_e64 v10, s0, v10, v16, s0
	v_cvt_f16_f32_e32 v0, v1
	s_waitcnt lgkmcnt(0)
	v_cvt_f16_f32_e32 v1, v11
	global_load_b32 v12, v[9:10], off offset:96
	v_pack_b32_f16 v0, v0, v1
.LBB5_197:                              ; =>This Inner Loop Header: Depth=1
	s_waitcnt vmcnt(0)
	s_delay_alu instid0(VALU_DEP_1) | instskip(SKIP_4) | instid1(VALU_DEP_2)
	v_pk_add_f16 v11, v0, v12
	global_atomic_cmpswap_b32 v1, v[9:10], v[11:12], off offset:96 glc
	s_waitcnt vmcnt(0)
	v_cmp_eq_u32_e64 s0, v1, v12
	v_mov_b32_e32 v12, v1
	s_or_b32 s1, s0, s1
	s_delay_alu instid0(SALU_CYCLE_1)
	s_and_not1_b32 exec_lo, exec_lo, s1
	s_cbranch_execnz .LBB5_197
.LBB5_198:
	s_or_b32 exec_lo, exec_lo, s4
	ds_bpermute_b32 v9, v14, v2
	s_and_saveexec_b32 s4, vcc_lo
	s_cbranch_execz .LBB5_202
; %bb.199:
	v_or3_b32 v0, v46, v47, 2
	v_cmp_gt_i32_e64 s1, s17, v13
	s_delay_alu instid0(VALU_DEP_2) | instskip(NEXT) | instid1(VALU_DEP_1)
	v_cmp_gt_i32_e64 s0, s16, v0
	s_and_b32 s0, s0, s1
	s_delay_alu instid0(SALU_CYCLE_1)
	s_and_b32 exec_lo, exec_lo, s0
	s_cbranch_execz .LBB5_202
; %bb.200:
	v_mul_lo_u32 v0, v0, s17
	s_ashr_i32 s0, s14, 31
	v_add_co_u32 v10, s1, s14, v45
	s_waitcnt lgkmcnt(1)
	v_add_co_ci_u32_e64 v11, null, s0, 0, s1
	v_cvt_f16_f32_e32 v2, v2
	s_waitcnt lgkmcnt(0)
	v_cvt_f16_f32_e32 v9, v9
	v_ashrrev_i32_e32 v1, 31, v0
	v_lshlrev_b64 v[10:11], 1, v[10:11]
	s_mov_b32 s1, 0
	s_delay_alu instid0(VALU_DEP_3) | instskip(NEXT) | instid1(VALU_DEP_3)
	v_pack_b32_f16 v2, v2, v9
	v_lshlrev_b64 v[0:1], 1, v[0:1]
	s_delay_alu instid0(VALU_DEP_1) | instskip(NEXT) | instid1(VALU_DEP_1)
	v_add_co_u32 v0, s0, s2, v0
	v_add_co_ci_u32_e64 v1, s0, s3, v1, s0
	s_delay_alu instid0(VALU_DEP_2) | instskip(NEXT) | instid1(VALU_DEP_1)
	v_add_co_u32 v0, s0, v0, v10
	v_add_co_ci_u32_e64 v1, s0, v1, v11, s0
	global_load_b32 v10, v[0:1], off offset:96
.LBB5_201:                              ; =>This Inner Loop Header: Depth=1
	s_waitcnt vmcnt(0)
	v_pk_add_f16 v9, v2, v10
	global_atomic_cmpswap_b32 v9, v[0:1], v[9:10], off offset:96 glc
	s_waitcnt vmcnt(0)
	v_cmp_eq_u32_e64 s0, v9, v10
	v_mov_b32_e32 v10, v9
	s_delay_alu instid0(VALU_DEP_2) | instskip(NEXT) | instid1(SALU_CYCLE_1)
	s_or_b32 s1, s0, s1
	s_and_not1_b32 exec_lo, exec_lo, s1
	s_cbranch_execnz .LBB5_201
.LBB5_202:
	s_or_b32 exec_lo, exec_lo, s4
	ds_bpermute_b32 v2, v14, v3
	s_and_saveexec_b32 s4, vcc_lo
	s_cbranch_execz .LBB5_206
; %bb.203:
	v_or3_b32 v0, v46, v47, 4
	v_cmp_gt_i32_e64 s1, s17, v13
	s_delay_alu instid0(VALU_DEP_2) | instskip(NEXT) | instid1(VALU_DEP_1)
	v_cmp_gt_i32_e64 s0, s16, v0
	s_and_b32 s0, s0, s1
	s_delay_alu instid0(SALU_CYCLE_1)
	s_and_b32 exec_lo, exec_lo, s0
	s_cbranch_execz .LBB5_206
; %bb.204:
	v_mul_lo_u32 v0, v0, s17
	s_ashr_i32 s0, s14, 31
	s_waitcnt lgkmcnt(1)
	v_add_co_u32 v9, s1, s14, v45
	s_delay_alu instid0(VALU_DEP_1)
	v_add_co_ci_u32_e64 v10, null, s0, 0, s1
	v_cvt_f16_f32_e32 v3, v3
	s_waitcnt lgkmcnt(0)
	v_cvt_f16_f32_e32 v2, v2
	v_ashrrev_i32_e32 v1, 31, v0
	v_lshlrev_b64 v[9:10], 1, v[9:10]
	s_mov_b32 s1, 0
	s_delay_alu instid0(VALU_DEP_3) | instskip(NEXT) | instid1(VALU_DEP_3)
	v_pack_b32_f16 v2, v3, v2
	v_lshlrev_b64 v[0:1], 1, v[0:1]
	s_delay_alu instid0(VALU_DEP_1) | instskip(NEXT) | instid1(VALU_DEP_1)
	v_add_co_u32 v0, s0, s2, v0
	v_add_co_ci_u32_e64 v1, s0, s3, v1, s0
	s_delay_alu instid0(VALU_DEP_2) | instskip(NEXT) | instid1(VALU_DEP_1)
	v_add_co_u32 v0, s0, v0, v9
	v_add_co_ci_u32_e64 v1, s0, v1, v10, s0
	global_load_b32 v10, v[0:1], off offset:96
.LBB5_205:                              ; =>This Inner Loop Header: Depth=1
	s_waitcnt vmcnt(0)
	v_pk_add_f16 v9, v2, v10
	global_atomic_cmpswap_b32 v3, v[0:1], v[9:10], off offset:96 glc
	s_waitcnt vmcnt(0)
	v_cmp_eq_u32_e64 s0, v3, v10
	v_mov_b32_e32 v10, v3
	s_delay_alu instid0(VALU_DEP_2) | instskip(NEXT) | instid1(SALU_CYCLE_1)
	s_or_b32 s1, s0, s1
	s_and_not1_b32 exec_lo, exec_lo, s1
	s_cbranch_execnz .LBB5_205
.LBB5_206:
	s_or_b32 exec_lo, exec_lo, s4
	s_waitcnt lgkmcnt(0)
	ds_bpermute_b32 v2, v14, v4
	s_and_saveexec_b32 s4, vcc_lo
	s_cbranch_execz .LBB5_210
; %bb.207:
	v_or3_b32 v0, v46, v47, 6
	v_cmp_gt_i32_e64 s1, s17, v13
	s_delay_alu instid0(VALU_DEP_2) | instskip(NEXT) | instid1(VALU_DEP_1)
	v_cmp_gt_i32_e64 s0, s16, v0
	s_and_b32 s0, s0, s1
	s_delay_alu instid0(SALU_CYCLE_1)
	s_and_b32 exec_lo, exec_lo, s0
	s_cbranch_execz .LBB5_210
; %bb.208:
	v_mul_lo_u32 v0, v0, s17
	s_ashr_i32 s0, s14, 31
	v_add_co_u32 v9, s1, s14, v45
	s_delay_alu instid0(VALU_DEP_1)
	v_add_co_ci_u32_e64 v10, null, s0, 0, s1
	v_cvt_f16_f32_e32 v4, v4
	s_waitcnt lgkmcnt(0)
	v_cvt_f16_f32_e32 v2, v2
	v_ashrrev_i32_e32 v1, 31, v0
	v_lshlrev_b64 v[9:10], 1, v[9:10]
	s_mov_b32 s1, 0
	s_delay_alu instid0(VALU_DEP_3) | instskip(NEXT) | instid1(VALU_DEP_3)
	v_pack_b32_f16 v4, v4, v2
	v_lshlrev_b64 v[0:1], 1, v[0:1]
	s_delay_alu instid0(VALU_DEP_1) | instskip(NEXT) | instid1(VALU_DEP_1)
	v_add_co_u32 v0, s0, s2, v0
	v_add_co_ci_u32_e64 v1, s0, s3, v1, s0
	s_delay_alu instid0(VALU_DEP_2) | instskip(NEXT) | instid1(VALU_DEP_1)
	v_add_co_u32 v0, s0, v0, v9
	v_add_co_ci_u32_e64 v1, s0, v1, v10, s0
	global_load_b32 v3, v[0:1], off offset:96
.LBB5_209:                              ; =>This Inner Loop Header: Depth=1
	s_waitcnt vmcnt(0)
	v_pk_add_f16 v2, v4, v3
	global_atomic_cmpswap_b32 v2, v[0:1], v[2:3], off offset:96 glc
	s_waitcnt vmcnt(0)
	v_cmp_eq_u32_e64 s0, v2, v3
	v_mov_b32_e32 v3, v2
	s_delay_alu instid0(VALU_DEP_2) | instskip(NEXT) | instid1(SALU_CYCLE_1)
	s_or_b32 s1, s0, s1
	s_and_not1_b32 exec_lo, exec_lo, s1
	s_cbranch_execnz .LBB5_209
.LBB5_210:
	s_or_b32 exec_lo, exec_lo, s4
	s_waitcnt lgkmcnt(0)
	ds_bpermute_b32 v2, v14, v5
	s_and_saveexec_b32 s4, vcc_lo
	s_cbranch_execz .LBB5_214
; %bb.211:
	v_or3_b32 v0, v46, v47, 8
	v_cmp_gt_i32_e64 s1, s17, v13
	s_delay_alu instid0(VALU_DEP_2) | instskip(NEXT) | instid1(VALU_DEP_1)
	v_cmp_gt_i32_e64 s0, s16, v0
	s_and_b32 s0, s0, s1
	s_delay_alu instid0(SALU_CYCLE_1)
	s_and_b32 exec_lo, exec_lo, s0
	s_cbranch_execz .LBB5_214
; %bb.212:
	v_mul_lo_u32 v0, v0, s17
	s_ashr_i32 s0, s14, 31
	v_add_co_u32 v3, s1, s14, v45
	s_delay_alu instid0(VALU_DEP_1) | instskip(SKIP_3) | instid1(VALU_DEP_4)
	v_add_co_ci_u32_e64 v4, null, s0, 0, s1
	s_waitcnt lgkmcnt(0)
	v_cvt_f16_f32_e32 v2, v2
	s_mov_b32 s1, 0
	v_ashrrev_i32_e32 v1, 31, v0
	v_lshlrev_b64 v[3:4], 1, v[3:4]
	s_delay_alu instid0(VALU_DEP_2) | instskip(NEXT) | instid1(VALU_DEP_1)
	v_lshlrev_b64 v[0:1], 1, v[0:1]
	v_add_co_u32 v0, s0, s2, v0
	s_delay_alu instid0(VALU_DEP_1) | instskip(NEXT) | instid1(VALU_DEP_2)
	v_add_co_ci_u32_e64 v1, s0, s3, v1, s0
	v_add_co_u32 v0, s0, v0, v3
	s_delay_alu instid0(VALU_DEP_1)
	v_add_co_ci_u32_e64 v1, s0, v1, v4, s0
	v_cvt_f16_f32_e32 v4, v5
	global_load_b32 v3, v[0:1], off offset:96
	v_pack_b32_f16 v4, v4, v2
.LBB5_213:                              ; =>This Inner Loop Header: Depth=1
	s_waitcnt vmcnt(0)
	s_delay_alu instid0(VALU_DEP_1) | instskip(SKIP_4) | instid1(VALU_DEP_2)
	v_pk_add_f16 v2, v4, v3
	global_atomic_cmpswap_b32 v2, v[0:1], v[2:3], off offset:96 glc
	s_waitcnt vmcnt(0)
	v_cmp_eq_u32_e64 s0, v2, v3
	v_mov_b32_e32 v3, v2
	s_or_b32 s1, s0, s1
	s_delay_alu instid0(SALU_CYCLE_1)
	s_and_not1_b32 exec_lo, exec_lo, s1
	s_cbranch_execnz .LBB5_213
.LBB5_214:
	s_or_b32 exec_lo, exec_lo, s4
	s_waitcnt lgkmcnt(0)
	ds_bpermute_b32 v2, v14, v6
	s_and_saveexec_b32 s4, vcc_lo
	s_cbranch_execz .LBB5_218
; %bb.215:
	v_or3_b32 v0, v46, v47, 10
	v_cmp_gt_i32_e64 s1, s17, v13
	s_delay_alu instid0(VALU_DEP_2) | instskip(NEXT) | instid1(VALU_DEP_1)
	v_cmp_gt_i32_e64 s0, s16, v0
	s_and_b32 s0, s0, s1
	s_delay_alu instid0(SALU_CYCLE_1)
	s_and_b32 exec_lo, exec_lo, s0
	s_cbranch_execz .LBB5_218
; %bb.216:
	v_mul_lo_u32 v0, v0, s17
	s_ashr_i32 s0, s14, 31
	v_add_co_u32 v3, s1, s14, v45
	s_delay_alu instid0(VALU_DEP_1) | instskip(SKIP_3) | instid1(VALU_DEP_4)
	v_add_co_ci_u32_e64 v4, null, s0, 0, s1
	s_waitcnt lgkmcnt(0)
	v_cvt_f16_f32_e32 v2, v2
	s_mov_b32 s1, 0
	v_ashrrev_i32_e32 v1, 31, v0
	v_lshlrev_b64 v[3:4], 1, v[3:4]
	s_delay_alu instid0(VALU_DEP_2) | instskip(NEXT) | instid1(VALU_DEP_1)
	v_lshlrev_b64 v[0:1], 1, v[0:1]
	v_add_co_u32 v0, s0, s2, v0
	s_delay_alu instid0(VALU_DEP_1) | instskip(NEXT) | instid1(VALU_DEP_2)
	v_add_co_ci_u32_e64 v1, s0, s3, v1, s0
	v_add_co_u32 v0, s0, v0, v3
	s_delay_alu instid0(VALU_DEP_1)
	v_add_co_ci_u32_e64 v1, s0, v1, v4, s0
	v_cvt_f16_f32_e32 v4, v6
	global_load_b32 v3, v[0:1], off offset:96
	v_pack_b32_f16 v4, v4, v2
.LBB5_217:                              ; =>This Inner Loop Header: Depth=1
	s_waitcnt vmcnt(0)
	s_delay_alu instid0(VALU_DEP_1) | instskip(SKIP_4) | instid1(VALU_DEP_2)
	v_pk_add_f16 v2, v4, v3
	global_atomic_cmpswap_b32 v2, v[0:1], v[2:3], off offset:96 glc
	s_waitcnt vmcnt(0)
	v_cmp_eq_u32_e64 s0, v2, v3
	v_mov_b32_e32 v3, v2
	s_or_b32 s1, s0, s1
	s_delay_alu instid0(SALU_CYCLE_1)
	s_and_not1_b32 exec_lo, exec_lo, s1
	s_cbranch_execnz .LBB5_217
.LBB5_218:
	;; [unrolled: 49-line block ×3, first 2 shown]
	s_or_b32 exec_lo, exec_lo, s4
	s_waitcnt lgkmcnt(0)
	ds_bpermute_b32 v2, v14, v8
	s_and_saveexec_b32 s0, vcc_lo
	s_cbranch_execz .LBB5_226
; %bb.223:
	v_or3_b32 v0, v46, v47, 14
	v_cmp_gt_i32_e64 s0, s17, v13
	s_delay_alu instid0(VALU_DEP_2) | instskip(NEXT) | instid1(VALU_DEP_2)
	v_cmp_gt_i32_e32 vcc_lo, s16, v0
	s_and_b32 s0, vcc_lo, s0
	s_delay_alu instid0(SALU_CYCLE_1)
	s_and_b32 exec_lo, exec_lo, s0
	s_cbranch_execz .LBB5_226
; %bb.224:
	v_mul_lo_u32 v0, v0, s17
	s_ashr_i32 s0, s14, 31
	v_add_co_u32 v3, s1, s14, v45
	s_delay_alu instid0(VALU_DEP_1) | instskip(SKIP_3) | instid1(VALU_DEP_4)
	v_add_co_ci_u32_e64 v4, null, s0, 0, s1
	s_waitcnt lgkmcnt(0)
	v_cvt_f16_f32_e32 v2, v2
	s_mov_b32 s0, 0
	v_ashrrev_i32_e32 v1, 31, v0
	v_lshlrev_b64 v[3:4], 1, v[3:4]
	s_delay_alu instid0(VALU_DEP_2) | instskip(NEXT) | instid1(VALU_DEP_1)
	v_lshlrev_b64 v[0:1], 1, v[0:1]
	v_add_co_u32 v0, vcc_lo, s2, v0
	s_delay_alu instid0(VALU_DEP_2) | instskip(NEXT) | instid1(VALU_DEP_2)
	v_add_co_ci_u32_e32 v1, vcc_lo, s3, v1, vcc_lo
	v_add_co_u32 v0, vcc_lo, v0, v3
	s_delay_alu instid0(VALU_DEP_2)
	v_add_co_ci_u32_e32 v1, vcc_lo, v1, v4, vcc_lo
	v_cvt_f16_f32_e32 v4, v8
	global_load_b32 v3, v[0:1], off offset:96
	v_pack_b32_f16 v4, v4, v2
.LBB5_225:                              ; =>This Inner Loop Header: Depth=1
	s_waitcnt vmcnt(0)
	s_delay_alu instid0(VALU_DEP_1)
	v_pk_add_f16 v2, v4, v3
	global_atomic_cmpswap_b32 v2, v[0:1], v[2:3], off offset:96 glc
	s_waitcnt vmcnt(0)
	v_cmp_eq_u32_e32 vcc_lo, v2, v3
	v_mov_b32_e32 v3, v2
	s_or_b32 s0, vcc_lo, s0
	s_delay_alu instid0(SALU_CYCLE_1)
	s_and_not1_b32 exec_lo, exec_lo, s0
	s_cbranch_execnz .LBB5_225
.LBB5_226:
	s_nop 0
	s_sendmsg sendmsg(MSG_DEALLOC_VGPRS)
	s_endpgm
	.section	.rodata,"a",@progbits
	.p2align	6, 0x0
	.amdhsa_kernel _ZN4vllm15gptq_rdna3_wmma30gemm_q4_wmma_kernel_128x64_k16I6__halfEEvPKT_PKjS7_S5_PS3_iiiiiPKi
		.amdhsa_group_segment_fixed_size 4096
		.amdhsa_private_segment_fixed_size 0
		.amdhsa_kernarg_size 328
		.amdhsa_user_sgpr_count 13
		.amdhsa_user_sgpr_dispatch_ptr 0
		.amdhsa_user_sgpr_queue_ptr 0
		.amdhsa_user_sgpr_kernarg_segment_ptr 1
		.amdhsa_user_sgpr_dispatch_id 0
		.amdhsa_user_sgpr_private_segment_size 0
		.amdhsa_wavefront_size32 1
		.amdhsa_uses_dynamic_stack 0
		.amdhsa_enable_private_segment 0
		.amdhsa_system_sgpr_workgroup_id_x 1
		.amdhsa_system_sgpr_workgroup_id_y 1
		.amdhsa_system_sgpr_workgroup_id_z 1
		.amdhsa_system_sgpr_workgroup_info 0
		.amdhsa_system_vgpr_workitem_id 0
		.amdhsa_next_free_vgpr 86
		.amdhsa_next_free_sgpr 29
		.amdhsa_reserve_vcc 1
		.amdhsa_float_round_mode_32 0
		.amdhsa_float_round_mode_16_64 0
		.amdhsa_float_denorm_mode_32 3
		.amdhsa_float_denorm_mode_16_64 3
		.amdhsa_dx10_clamp 1
		.amdhsa_ieee_mode 1
		.amdhsa_fp16_overflow 0
		.amdhsa_workgroup_processor_mode 1
		.amdhsa_memory_ordered 1
		.amdhsa_forward_progress 0
		.amdhsa_shared_vgpr_count 0
		.amdhsa_exception_fp_ieee_invalid_op 0
		.amdhsa_exception_fp_denorm_src 0
		.amdhsa_exception_fp_ieee_div_zero 0
		.amdhsa_exception_fp_ieee_overflow 0
		.amdhsa_exception_fp_ieee_underflow 0
		.amdhsa_exception_fp_ieee_inexact 0
		.amdhsa_exception_int_div_zero 0
	.end_amdhsa_kernel
	.section	.text._ZN4vllm15gptq_rdna3_wmma30gemm_q4_wmma_kernel_128x64_k16I6__halfEEvPKT_PKjS7_S5_PS3_iiiiiPKi,"axG",@progbits,_ZN4vllm15gptq_rdna3_wmma30gemm_q4_wmma_kernel_128x64_k16I6__halfEEvPKT_PKjS7_S5_PS3_iiiiiPKi,comdat
.Lfunc_end5:
	.size	_ZN4vllm15gptq_rdna3_wmma30gemm_q4_wmma_kernel_128x64_k16I6__halfEEvPKT_PKjS7_S5_PS3_iiiiiPKi, .Lfunc_end5-_ZN4vllm15gptq_rdna3_wmma30gemm_q4_wmma_kernel_128x64_k16I6__halfEEvPKT_PKjS7_S5_PS3_iiiiiPKi
                                        ; -- End function
	.section	.AMDGPU.csdata,"",@progbits
; Kernel info:
; codeLenInByte = 14404
; NumSgprs: 31
; NumVgprs: 86
; ScratchSize: 0
; MemoryBound: 1
; FloatMode: 240
; IeeeMode: 1
; LDSByteSize: 4096 bytes/workgroup (compile time only)
; SGPRBlocks: 3
; VGPRBlocks: 10
; NumSGPRsForWavesPerEU: 31
; NumVGPRsForWavesPerEU: 86
; Occupancy: 16
; WaveLimiterHint : 0
; COMPUTE_PGM_RSRC2:SCRATCH_EN: 0
; COMPUTE_PGM_RSRC2:USER_SGPR: 13
; COMPUTE_PGM_RSRC2:TRAP_HANDLER: 0
; COMPUTE_PGM_RSRC2:TGID_X_EN: 1
; COMPUTE_PGM_RSRC2:TGID_Y_EN: 1
; COMPUTE_PGM_RSRC2:TGID_Z_EN: 1
; COMPUTE_PGM_RSRC2:TIDIG_COMP_CNT: 0
	.section	.text._ZN4vllm15gptq_rdna3_wmma28gemm_q4_wmma_kernel_64x64_4wI6__halfEEvPKT_PKjS7_S5_PS3_iiiiiPKi,"axG",@progbits,_ZN4vllm15gptq_rdna3_wmma28gemm_q4_wmma_kernel_64x64_4wI6__halfEEvPKT_PKjS7_S5_PS3_iiiiiPKi,comdat
	.protected	_ZN4vllm15gptq_rdna3_wmma28gemm_q4_wmma_kernel_64x64_4wI6__halfEEvPKT_PKjS7_S5_PS3_iiiiiPKi ; -- Begin function _ZN4vllm15gptq_rdna3_wmma28gemm_q4_wmma_kernel_64x64_4wI6__halfEEvPKT_PKjS7_S5_PS3_iiiiiPKi
	.globl	_ZN4vllm15gptq_rdna3_wmma28gemm_q4_wmma_kernel_64x64_4wI6__halfEEvPKT_PKjS7_S5_PS3_iiiiiPKi
	.p2align	8
	.type	_ZN4vllm15gptq_rdna3_wmma28gemm_q4_wmma_kernel_64x64_4wI6__halfEEvPKT_PKjS7_S5_PS3_iiiiiPKi,@function
_ZN4vllm15gptq_rdna3_wmma28gemm_q4_wmma_kernel_64x64_4wI6__halfEEvPKT_PKjS7_S5_PS3_iiiiiPKi: ; @_ZN4vllm15gptq_rdna3_wmma28gemm_q4_wmma_kernel_64x64_4wI6__halfEEvPKT_PKjS7_S5_PS3_iiiiiPKi
; %bb.0:
	s_load_b128 s[20:23], s[0:1], 0x28
	s_lshl_b32 s6, s14, 6
	s_lshl_b32 s3, s13, 6
	s_waitcnt lgkmcnt(0)
	s_cmp_ge_i32 s6, s20
	s_cselect_b32 s2, -1, 0
	s_cmp_ge_i32 s3, s21
	s_cselect_b32 s4, -1, 0
	s_delay_alu instid0(SALU_CYCLE_1) | instskip(NEXT) | instid1(SALU_CYCLE_1)
	s_or_b32 s2, s2, s4
	s_and_b32 vcc_lo, exec_lo, s2
	s_cbranch_vccnz .LBB6_229
; %bb.1:
	s_load_b32 s33, s[0:1], 0x50
	s_abs_i32 s2, s23
	s_xor_b32 s5, s22, s23
	s_load_b32 s23, s[0:1], 0x38
	v_cvt_f32_u32_e32 v1, s2
	s_sub_i32 s7, 0, s2
	s_abs_i32 s8, s22
	s_ashr_i32 s5, s5, 31
	v_and_b32_e32 v45, 15, v0
	v_rcp_iflag_f32_e32 v1, v1
	s_clause 0x1
	s_load_b128 s[24:27], s[0:1], 0x8
	s_load_b64 s[30:31], s[0:1], 0x18
	v_bfe_u32 v46, v0, 4, 1
	v_lshlrev_b32_e32 v33, 2, v0
	s_waitcnt lgkmcnt(0)
	v_cvt_f32_u32_e32 v2, s33
	s_delay_alu instid0(VALU_DEP_1) | instskip(SKIP_2) | instid1(VALU_DEP_1)
	v_rcp_iflag_f32_e32 v2, v2
	s_waitcnt_depctr 0xfff
	v_dual_mul_f32 v1, 0x4f7ffffe, v1 :: v_dual_mul_f32 v2, 0x4f7ffffe, v2
	v_cvt_u32_f32_e32 v1, v1
	s_delay_alu instid0(VALU_DEP_2) | instskip(NEXT) | instid1(VALU_DEP_2)
	v_cvt_u32_f32_e32 v2, v2
	v_readfirstlane_b32 s4, v1
	v_lshrrev_b32_e32 v1, 1, v0
	s_delay_alu instid0(VALU_DEP_3) | instskip(NEXT) | instid1(VALU_DEP_3)
	v_readfirstlane_b32 s10, v2
	s_mul_i32 s7, s7, s4
	s_delay_alu instid0(VALU_DEP_2) | instskip(SKIP_1) | instid1(SALU_CYCLE_1)
	v_and_b32_e32 v1, 0x1f0, v1
	s_mul_hi_u32 s7, s4, s7
	s_add_i32 s4, s4, s7
	s_delay_alu instid0(SALU_CYCLE_1) | instskip(NEXT) | instid1(VALU_DEP_1)
	s_mul_hi_u32 s4, s8, s4
	v_or_b32_e32 v47, v1, v45
	s_mul_i32 s7, s4, s2
	s_delay_alu instid0(SALU_CYCLE_1)
	s_sub_i32 s7, s8, s7
	s_add_i32 s8, s4, 1
	s_sub_i32 s9, s7, s2
	s_cmp_ge_u32 s7, s2
	v_add_nc_u32_e32 v41, s3, v47
	s_cselect_b32 s4, s8, s4
	s_cselect_b32 s7, s9, s7
	s_add_i32 s8, s4, 1
	s_cmp_ge_u32 s7, s2
	v_ashrrev_i32_e32 v34, 31, v41
	s_cselect_b32 s4, s8, s4
	s_sub_i32 s2, 0, s33
	s_xor_b32 s4, s4, s5
	s_mul_i32 s2, s2, s10
	s_sub_i32 s5, s4, s5
	s_mul_hi_u32 s2, s10, s2
	s_delay_alu instid0(SALU_CYCLE_1) | instskip(SKIP_2) | instid1(SALU_CYCLE_1)
	s_add_i32 s10, s10, s2
	v_cmp_le_i32_e64 s2, s21, v41
	s_mul_hi_u32 s7, s22, s10
	s_mul_i32 s8, s7, s33
	s_delay_alu instid0(SALU_CYCLE_1)
	s_sub_i32 s4, s22, s8
	s_add_i32 s8, s7, 1
	s_sub_i32 s9, s4, s33
	s_cmp_ge_u32 s4, s33
	s_cselect_b32 s7, s8, s7
	s_cselect_b32 s4, s9, s4
	s_add_i32 s8, s7, 1
	s_cmp_ge_u32 s4, s33
	s_cselect_b32 s10, s8, s7
	s_mov_b32 s7, exec_lo
	s_mul_i32 s4, s10, s15
	v_cmpx_gt_i32_e64 s21, v41
	s_cbranch_execz .LBB6_3
; %bb.2:
	s_abs_i32 s8, s5
	s_abs_i32 s14, s4
	v_cvt_f32_u32_e32 v2, s8
	s_sub_i32 s13, 0, s8
	s_ashr_i32 s11, s4, 31
	s_xor_b32 s12, s4, s5
	s_lshr_b32 s11, s11, 29
	v_rcp_iflag_f32_e32 v2, v2
	s_add_i32 s11, s4, s11
	s_ashr_i32 s12, s12, 31
	s_ashr_i32 s11, s11, 3
	s_delay_alu instid0(SALU_CYCLE_1) | instskip(NEXT) | instid1(VALU_DEP_1)
	v_add_nc_u32_e32 v7, s11, v46
	v_mad_u64_u32 v[5:6], null, v7, s21, v[41:42]
	s_waitcnt_depctr 0xfff
	v_mul_f32_e32 v2, 0x4f7ffffe, v2
	s_delay_alu instid0(VALU_DEP_1) | instskip(SKIP_1) | instid1(VALU_DEP_2)
	v_cvt_u32_f32_e32 v2, v2
	v_ashrrev_i32_e32 v6, 31, v5
	v_readfirstlane_b32 s9, v2
	v_lshrrev_b32_e32 v2, 29, v34
	s_delay_alu instid0(VALU_DEP_2) | instskip(NEXT) | instid1(VALU_DEP_1)
	s_mul_i32 s13, s13, s9
	v_add_nc_u32_e32 v2, v41, v2
	s_mul_hi_u32 s13, s9, s13
	s_delay_alu instid0(SALU_CYCLE_1) | instskip(NEXT) | instid1(SALU_CYCLE_1)
	s_add_i32 s9, s9, s13
	s_mul_hi_u32 s9, s14, s9
	s_delay_alu instid0(VALU_DEP_1) | instskip(SKIP_1) | instid1(SALU_CYCLE_1)
	v_ashrrev_i32_e32 v2, 3, v2
	s_mul_i32 s13, s9, s8
	s_sub_i32 s13, s14, s13
	s_add_i32 s14, s9, 1
	s_sub_i32 s15, s13, s8
	s_cmp_ge_u32 s13, s8
	s_cselect_b32 s9, s14, s9
	s_cselect_b32 s13, s15, s13
	s_add_i32 s14, s9, 1
	s_cmp_ge_u32 s13, s8
	s_cselect_b32 s8, s14, s9
	s_ashr_i32 s9, s21, 31
	s_xor_b32 s8, s8, s12
	s_lshr_b32 s9, s9, 29
	s_sub_i32 s8, s8, s12
	s_add_i32 s9, s21, s9
	s_delay_alu instid0(SALU_CYCLE_1) | instskip(NEXT) | instid1(SALU_CYCLE_1)
	s_ashr_i32 s9, s9, 3
	v_mad_u64_u32 v[3:4], null, s8, s9, v[2:3]
	s_delay_alu instid0(VALU_DEP_1) | instskip(NEXT) | instid1(VALU_DEP_1)
	v_ashrrev_i32_e32 v4, 31, v3
	v_lshlrev_b64 v[2:3], 2, v[3:4]
	v_lshlrev_b64 v[4:5], 2, v[5:6]
	v_mad_u64_u32 v[6:7], null, s8, s21, v[41:42]
	s_mov_b32 s8, 0xf000f
	s_delay_alu instid0(VALU_DEP_3) | instskip(NEXT) | instid1(VALU_DEP_4)
	v_add_co_u32 v2, vcc_lo, s26, v2
	v_add_co_ci_u32_e32 v3, vcc_lo, s27, v3, vcc_lo
	s_delay_alu instid0(VALU_DEP_3)
	v_ashrrev_i32_e32 v7, 31, v6
	global_load_b32 v8, v[2:3], off
	v_add_co_u32 v2, vcc_lo, s24, v4
	v_add_co_ci_u32_e32 v3, vcc_lo, s25, v5, vcc_lo
	global_load_b32 v4, v[2:3], off
	v_lshlrev_b64 v[2:3], 1, v[6:7]
	s_delay_alu instid0(VALU_DEP_1) | instskip(NEXT) | instid1(VALU_DEP_2)
	v_add_co_u32 v2, vcc_lo, s30, v2
	v_add_co_ci_u32_e32 v3, vcc_lo, s31, v3, vcc_lo
	global_load_u16 v2, v[2:3], off
	v_and_b32_e32 v3, 28, v33
	s_waitcnt vmcnt(2)
	s_delay_alu instid0(VALU_DEP_1) | instskip(SKIP_1) | instid1(VALU_DEP_2)
	v_bfe_u32 v3, v8, v3, 4
	v_lshlrev_b32_e32 v8, 1, v47
	v_add_nc_u32_e32 v3, s23, v3
	s_delay_alu instid0(VALU_DEP_2)
	v_lshl_or_b32 v8, v46, 10, v8
	s_waitcnt vmcnt(1)
	v_lshrrev_b32_e32 v6, 4, v4
	v_lshrrev_b32_e32 v7, 8, v4
	v_and_or_b32 v5, v4, s8, 0x64006400
	v_lshrrev_b32_e32 v4, 12, v4
	v_or_b32_e32 v3, 0x6400, v3
	v_and_or_b32 v6, v6, s8, 0x64006400
	v_and_or_b32 v7, v7, s8, 0x64006400
	s_delay_alu instid0(VALU_DEP_4) | instskip(NEXT) | instid1(VALU_DEP_4)
	v_and_or_b32 v4, v4, s8, 0x64006400
	v_pk_add_f16 v5, v5, v3 op_sel_hi:[1,0] neg_lo:[0,1] neg_hi:[0,1]
	s_delay_alu instid0(VALU_DEP_4) | instskip(NEXT) | instid1(VALU_DEP_4)
	v_pk_add_f16 v6, v6, v3 op_sel_hi:[1,0] neg_lo:[0,1] neg_hi:[0,1]
	v_pk_add_f16 v7, v7, v3 op_sel_hi:[1,0] neg_lo:[0,1] neg_hi:[0,1]
	s_delay_alu instid0(VALU_DEP_4)
	v_pk_add_f16 v3, v4, v3 op_sel_hi:[1,0] neg_lo:[0,1] neg_hi:[0,1]
	s_waitcnt vmcnt(0)
	v_pk_mul_f16 v4, v2, v5 op_sel_hi:[0,1]
	v_pk_mul_f16 v5, v2, v6 op_sel_hi:[0,1]
	;; [unrolled: 1-line block ×4, first 2 shown]
	ds_store_b16 v8, v4
	ds_store_b16_d16_hi v8, v4 offset:128
	ds_store_b16 v8, v5 offset:256
	ds_store_b16_d16_hi v8, v5 offset:384
	ds_store_b16 v8, v6 offset:512
	;; [unrolled: 2-line block ×3, first 2 shown]
	ds_store_b16_d16_hi v8, v2 offset:896
.LBB6_3:
	s_or_b32 exec_lo, exec_lo, s7
	v_add_nc_u32_e32 v48, s6, v1
	s_cmp_gt_i32 s10, 0
	s_waitcnt lgkmcnt(0)
	s_barrier
	buffer_gl0_inv
	s_cbranch_scc1 .LBB6_5
; %bb.4:
	v_add_nc_u32_e32 v39, s6, v1
	s_mov_b32 s6, 0
	s_mov_b32 s7, 0
	s_branch .LBB6_6
.LBB6_5:
	s_mov_b32 s6, -1
                                        ; implicit-def: $sgpr7
                                        ; implicit-def: $vgpr39
.LBB6_6:
	s_load_b64 s[28:29], s[0:1], 0x20
	v_dual_mov_b32 v32, s7 :: v_dual_mov_b32 v31, s7
	v_dual_mov_b32 v30, s7 :: v_dual_mov_b32 v29, s7
	;; [unrolled: 1-line block ×16, first 2 shown]
	s_and_not1_b32 vcc_lo, exec_lo, s6
	s_cbranch_vccnz .LBB6_18
; %bb.7:
	s_clause 0x1
	s_load_b64 s[8:9], s[0:1], 0x40
	s_load_b64 s[6:7], s[0:1], 0x0
	s_ashr_i32 s0, s21, 31
	s_add_i32 s1, s4, s10
	s_lshr_b32 s0, s0, 29
	v_dual_mov_b32 v25, 0 :: v_dual_lshlrev_b32 v2, 3, v46
	s_add_i32 s0, s21, s0
	v_lshrrev_b32_e32 v1, 29, v34
	s_ashr_i32 s34, s0, 3
	s_delay_alu instid0(VALU_DEP_2) | instskip(SKIP_3) | instid1(VALU_DEP_3)
	v_dual_mov_b32 v29, v25 :: v_dual_lshlrev_b32 v50, 7, v2
	v_or_b32_e32 v3, v48, v45
	v_dual_mov_b32 v27, v25 :: v_dual_add_nc_u32 v4, v48, v45
	v_dual_mov_b32 v26, v25 :: v_dual_and_b32 v49, 28, v33
	v_cmp_gt_i32_e64 s0, s20, v3
	v_mov_b32_e32 v28, v25
	v_mov_b32_e32 v30, v25
	s_waitcnt lgkmcnt(0)
	s_cmp_lg_u64 s[8:9], 0
	v_mov_b32_e32 v31, v25
	s_cselect_b32 s35, -1, 0
	s_abs_i32 s36, s5
	v_mov_b32_e32 v32, v25
	v_cvt_f32_u32_e32 v6, s36
	s_sub_i32 s10, 0, s36
	v_mov_b32_e32 v17, v25
	v_mov_b32_e32 v18, v25
	;; [unrolled: 1-line block ×3, first 2 shown]
	v_rcp_iflag_f32_e32 v2, v6
	v_add_nc_u32_e32 v5, v41, v1
	v_mul_lo_u32 v1, v3, s22
	v_mul_lo_u32 v3, s22, v4
	s_ashr_i32 s22, s5, 31
	s_ashr_i32 s5, s4, 31
	v_mov_b32_e32 v20, v25
	v_mov_b32_e32 v21, v25
	;; [unrolled: 1-line block ×3, first 2 shown]
	s_delay_alu instid0(TRANS32_DEP_1)
	v_dual_mov_b32 v23, v25 :: v_dual_mul_f32 v6, 0x4f7ffffe, v2
	v_ashrrev_i32_e32 v2, 31, v1
	v_ashrrev_i32_e32 v4, 31, v3
	;; [unrolled: 1-line block ×3, first 2 shown]
	v_mov_b32_e32 v24, v25
	v_cvt_u32_f32_e32 v6, v6
	v_lshlrev_b64 v[1:2], 1, v[1:2]
	v_lshlrev_b64 v[3:4], 1, v[3:4]
	v_mov_b32_e32 v9, v25
	v_mov_b32_e32 v10, v25
	v_readfirstlane_b32 s12, v6
	v_mov_b32_e32 v11, v25
	v_add_co_u32 v51, vcc_lo, s6, v1
	v_add_co_ci_u32_e32 v52, vcc_lo, s7, v2, vcc_lo
	s_delay_alu instid0(VALU_DEP_4)
	s_mul_i32 s10, s10, s12
	v_mov_b32_e32 v12, v25
	s_mul_hi_u32 s13, s12, s10
	s_lshl_b64 s[10:11], s[4:5], 2
	s_add_i32 s37, s12, s13
	s_add_u32 s8, s10, s8
	s_addc_u32 s9, s11, s9
	s_add_u32 s38, s8, 60
	s_addc_u32 s39, s9, 0
	s_lshl_b64 s[8:9], s[4:5], 1
	s_add_i32 s40, s4, 16
	s_add_u32 s4, s6, s8
	s_addc_u32 s5, s7, s9
	v_add_co_u32 v43, vcc_lo, s4, v3
	v_add_co_ci_u32_e32 v44, vcc_lo, s5, v4, vcc_lo
	v_mov_b32_e32 v13, v25
	v_mov_b32_e32 v14, v25
	;; [unrolled: 1-line block ×12, first 2 shown]
	s_mov_b32 s42, 0
	s_xor_b32 s2, s2, -1
	s_mov_b32 s41, 0xf000f
.LBB6_8:                                ; =>This Inner Loop Header: Depth=1
	s_cmp_lt_i32 s40, s1
	s_cselect_b32 s4, -1, 0
	s_delay_alu instid0(SALU_CYCLE_1) | instskip(NEXT) | instid1(SALU_CYCLE_1)
	s_and_b32 s5, s2, s4
	s_and_saveexec_b32 s4, s5
	s_cbranch_execz .LBB6_10
; %bb.9:                                ;   in Loop: Header=BB6_8 Depth=1
	s_abs_i32 s6, s40
	s_ashr_i32 s5, s40, 31
	s_mul_hi_u32 s8, s6, s37
	s_lshr_b32 s7, s5, 29
	s_mul_i32 s9, s8, s36
	s_add_i32 s7, s40, s7
	s_sub_i32 s6, s6, s9
	s_ashr_i32 s7, s7, 3
	s_xor_b32 s5, s5, s22
	s_add_i32 s9, s8, 1
	s_sub_i32 s10, s6, s36
	s_cmp_ge_u32 s6, s36
	v_add_nc_u32_e32 v37, s7, v46
	s_cselect_b32 s8, s9, s8
	s_cselect_b32 s6, s10, s6
	s_add_i32 s9, s8, 1
	s_cmp_ge_u32 s6, s36
	v_mad_u64_u32 v[35:36], null, v37, s21, v[41:42]
	s_cselect_b32 s6, s9, s8
	s_delay_alu instid0(SALU_CYCLE_1) | instskip(NEXT) | instid1(SALU_CYCLE_1)
	s_xor_b32 s6, s6, s5
	s_sub_i32 s5, s6, s5
	s_delay_alu instid0(SALU_CYCLE_1) | instskip(NEXT) | instid1(VALU_DEP_2)
	v_mad_u64_u32 v[33:34], null, s5, s34, v[42:43]
	v_ashrrev_i32_e32 v36, 31, v35
	v_mad_u64_u32 v[37:38], null, s5, s21, v[41:42]
	s_lshl_b32 s5, s42, 11
	s_delay_alu instid0(VALU_DEP_2) | instskip(NEXT) | instid1(VALU_DEP_4)
	v_lshlrev_b64 v[35:36], 2, v[35:36]
	v_ashrrev_i32_e32 v34, 31, v33
	s_delay_alu instid0(VALU_DEP_3) | instskip(NEXT) | instid1(VALU_DEP_2)
	v_ashrrev_i32_e32 v38, 31, v37
	v_lshlrev_b64 v[33:34], 2, v[33:34]
	s_delay_alu instid0(VALU_DEP_1) | instskip(NEXT) | instid1(VALU_DEP_2)
	v_add_co_u32 v33, vcc_lo, s26, v33
	v_add_co_ci_u32_e32 v34, vcc_lo, s27, v34, vcc_lo
	global_load_b32 v39, v[33:34], off
	v_add_co_u32 v33, vcc_lo, s24, v35
	v_add_co_ci_u32_e32 v34, vcc_lo, s25, v36, vcc_lo
	global_load_b32 v35, v[33:34], off
	v_lshlrev_b64 v[33:34], 1, v[37:38]
	s_delay_alu instid0(VALU_DEP_1) | instskip(NEXT) | instid1(VALU_DEP_2)
	v_add_co_u32 v33, vcc_lo, s30, v33
	v_add_co_ci_u32_e32 v34, vcc_lo, s31, v34, vcc_lo
	global_load_u16 v33, v[33:34], off
	s_waitcnt vmcnt(2)
	v_bfe_u32 v34, v39, v49, 4
	v_subrev_nc_u32_e32 v39, s5, v50
	s_delay_alu instid0(VALU_DEP_2) | instskip(NEXT) | instid1(VALU_DEP_2)
	v_add_nc_u32_e32 v34, s23, v34
	v_lshl_add_u32 v39, v47, 1, v39
	s_waitcnt vmcnt(1)
	v_lshrrev_b32_e32 v37, 4, v35
	v_lshrrev_b32_e32 v38, 8, v35
	v_and_or_b32 v36, v35, s41, 0x64006400
	v_lshrrev_b32_e32 v35, 12, v35
	v_or_b32_e32 v34, 0x6400, v34
	v_and_or_b32 v37, v37, s41, 0x64006400
	v_and_or_b32 v38, v38, s41, 0x64006400
	s_delay_alu instid0(VALU_DEP_4) | instskip(NEXT) | instid1(VALU_DEP_4)
	v_and_or_b32 v35, v35, s41, 0x64006400
	v_pk_add_f16 v36, v36, v34 op_sel_hi:[1,0] neg_lo:[0,1] neg_hi:[0,1]
	s_delay_alu instid0(VALU_DEP_4) | instskip(NEXT) | instid1(VALU_DEP_4)
	v_pk_add_f16 v37, v37, v34 op_sel_hi:[1,0] neg_lo:[0,1] neg_hi:[0,1]
	v_pk_add_f16 v38, v38, v34 op_sel_hi:[1,0] neg_lo:[0,1] neg_hi:[0,1]
	s_delay_alu instid0(VALU_DEP_4)
	v_pk_add_f16 v34, v35, v34 op_sel_hi:[1,0] neg_lo:[0,1] neg_hi:[0,1]
	s_waitcnt vmcnt(0)
	v_pk_mul_f16 v35, v33, v36 op_sel_hi:[0,1]
	v_pk_mul_f16 v36, v33, v37 op_sel_hi:[0,1]
	;; [unrolled: 1-line block ×4, first 2 shown]
	ds_store_b16 v39, v35 offset:2048
	ds_store_b16_d16_hi v39, v35 offset:2176
	ds_store_b16 v39, v36 offset:2304
	ds_store_b16_d16_hi v39, v36 offset:2432
	;; [unrolled: 2-line block ×4, first 2 shown]
.LBB6_10:                               ;   in Loop: Header=BB6_8 Depth=1
	s_or_b32 exec_lo, exec_lo, s4
	v_dual_mov_b32 v33, 0 :: v_dual_mov_b32 v34, 0
	v_dual_mov_b32 v35, 0 :: v_dual_mov_b32 v36, 0
	;; [unrolled: 1-line block ×4, first 2 shown]
	s_and_saveexec_b32 s43, s0
	s_cbranch_execz .LBB6_14
; %bb.11:                               ;   in Loop: Header=BB6_8 Depth=1
	s_and_not1_b32 vcc_lo, exec_lo, s35
	s_cbranch_vccnz .LBB6_16
; %bb.12:                               ;   in Loop: Header=BB6_8 Depth=1
	s_add_u32 s4, s38, 0xffffffc4
	s_addc_u32 s5, s39, -1
	s_load_b512 s[4:19], s[4:5], 0x0
	s_waitcnt lgkmcnt(0)
	s_ashr_i32 s45, s4, 31
	s_mov_b32 s44, s4
	s_ashr_i32 s47, s6, 31
	s_lshl_b64 s[44:45], s[44:45], 1
	s_mov_b32 s46, s6
	v_add_co_u32 v33, vcc_lo, v51, s44
	s_lshl_b64 s[46:47], s[46:47], 1
	s_ashr_i32 s49, s8, 31
	s_mov_b32 s48, s8
	v_add_co_ci_u32_e32 v34, vcc_lo, s45, v52, vcc_lo
	v_add_co_u32 v35, vcc_lo, v51, s46
	s_lshl_b64 s[48:49], s[48:49], 1
	s_ashr_i32 s51, s10, 31
	s_mov_b32 s50, s10
	v_add_co_ci_u32_e32 v36, vcc_lo, s47, v52, vcc_lo
	v_add_co_u32 v37, vcc_lo, v51, s48
	s_lshl_b64 s[50:51], s[50:51], 1
	s_ashr_i32 s53, s12, 31
	v_add_co_ci_u32_e32 v38, vcc_lo, s49, v52, vcc_lo
	s_mov_b32 s52, s12
	v_add_co_u32 v39, vcc_lo, v51, s50
	s_lshl_b64 s[44:45], s[52:53], 1
	v_add_co_ci_u32_e32 v40, vcc_lo, s51, v52, vcc_lo
	s_ashr_i32 s47, s14, 31
	s_mov_b32 s46, s14
	v_add_co_u32 v53, vcc_lo, v51, s44
	v_add_co_ci_u32_e32 v54, vcc_lo, s45, v52, vcc_lo
	s_lshl_b64 s[44:45], s[46:47], 1
	s_ashr_i32 s47, s16, 31
	s_mov_b32 s46, s16
	v_add_co_u32 v55, vcc_lo, v51, s44
	v_add_co_ci_u32_e32 v56, vcc_lo, s45, v52, vcc_lo
	s_lshl_b64 s[44:45], s[46:47], 1
	;; [unrolled: 5-line block ×3, first 2 shown]
	s_mov_b32 s4, s7
	v_add_co_u32 v59, vcc_lo, v51, s44
	v_add_co_ci_u32_e32 v60, vcc_lo, s45, v52, vcc_lo
	s_clause 0x7
	global_load_u16 v33, v[33:34], off
	global_load_u16 v34, v[35:36], off
	global_load_u16 v35, v[37:38], off
	global_load_u16 v36, v[39:40], off
	global_load_u16 v37, v[53:54], off
	global_load_u16 v38, v[55:56], off
	global_load_u16 v39, v[57:58], off
	global_load_u16 v40, v[59:60], off
	s_ashr_i32 s45, s5, 31
	s_mov_b32 s44, s5
	s_ashr_i32 s5, s7, 31
	s_ashr_i32 s7, s9, 31
	s_mov_b32 s6, s9
	s_ashr_i32 s9, s11, 31
	s_mov_b32 s8, s11
	;; [unrolled: 2-line block ×6, first 2 shown]
	s_lshl_b64 s[18:19], s[44:45], 1
	s_lshl_b64 s[4:5], s[4:5], 1
	v_add_co_u32 v53, vcc_lo, v51, s18
	v_add_co_ci_u32_e32 v54, vcc_lo, s19, v52, vcc_lo
	v_add_co_u32 v55, vcc_lo, v51, s4
	s_lshl_b64 s[6:7], s[6:7], 1
	v_add_co_ci_u32_e32 v56, vcc_lo, s5, v52, vcc_lo
	v_add_co_u32 v57, vcc_lo, v51, s6
	s_lshl_b64 s[8:9], s[8:9], 1
	;; [unrolled: 3-line block ×6, first 2 shown]
	v_add_co_ci_u32_e32 v66, vcc_lo, s15, v52, vcc_lo
	v_add_co_u32 v67, vcc_lo, v51, s16
	v_add_co_ci_u32_e32 v68, vcc_lo, s17, v52, vcc_lo
	s_clause 0x7
	global_load_d16_hi_b16 v33, v[53:54], off
	global_load_d16_hi_b16 v34, v[55:56], off
	;; [unrolled: 1-line block ×8, first 2 shown]
	s_cbranch_execnz .LBB6_14
.LBB6_13:                               ;   in Loop: Header=BB6_8 Depth=1
	s_clause 0x1
	global_load_b128 v[33:36], v[43:44], off
	global_load_b128 v[37:40], v[43:44], off offset:16
.LBB6_14:                               ;   in Loop: Header=BB6_8 Depth=1
	s_or_b32 exec_lo, exec_lo, s43
	v_lshlrev_b32_e32 v53, 1, v45
	v_add_co_u32 v43, vcc_lo, v43, 32
	v_add_co_ci_u32_e32 v44, vcc_lo, 0, v44, vcc_lo
	s_delay_alu instid0(VALU_DEP_3)
	v_lshl_or_b32 v85, s42, 11, v53
	s_sub_i32 s42, 1, s42
	s_add_u32 s38, s38, 64
	s_addc_u32 s39, s39, 0
	s_add_i32 s4, s40, 16
	ds_load_u16 v53, v85
	ds_load_u16 v61, v85 offset:32
	ds_load_u16 v69, v85 offset:64
	;; [unrolled: 1-line block ×11, first 2 shown]
	s_cmp_ge_i32 s40, s1
	s_waitcnt lgkmcnt(11)
	ds_load_u16_d16_hi v53, v85 offset:128
	s_waitcnt lgkmcnt(11)
	ds_load_u16_d16_hi v61, v85 offset:160
	;; [unrolled: 2-line block ×10, first 2 shown]
	ds_load_u16 v56, v85 offset:768
	ds_load_u16 v72, v85 offset:832
	s_waitcnt lgkmcnt(13)
	ds_load_u16_d16_hi v63, v85 offset:672
	s_waitcnt lgkmcnt(13)
	ds_load_u16_d16_hi v79, v85 offset:736
	ds_load_u16 v64, v85 offset:800
	ds_load_u16 v80, v85 offset:864
	;; [unrolled: 1-line block ×18, first 2 shown]
	s_waitcnt lgkmcnt(21)
	ds_load_u16_d16_hi v56, v85 offset:896
	s_waitcnt lgkmcnt(21)
	ds_load_u16_d16_hi v72, v85 offset:960
	;; [unrolled: 2-line block ×20, first 2 shown]
	s_waitcnt vmcnt(0) lgkmcnt(0)
	s_barrier
	buffer_gl0_inv
	v_wmma_f32_16x16x16_f16 v[25:32], v[33:40], v[53:60], v[25:32]
	v_wmma_f32_16x16x16_f16 v[9:16], v[33:40], v[69:76], v[9:16]
	;; [unrolled: 1-line block ×4, first 2 shown]
	s_cbranch_scc1 .LBB6_17
; %bb.15:                               ;   in Loop: Header=BB6_8 Depth=1
	s_mov_b32 s40, s4
	s_branch .LBB6_8
.LBB6_16:                               ;   in Loop: Header=BB6_8 Depth=1
                                        ; implicit-def: $vgpr40
	s_branch .LBB6_13
.LBB6_17:
	v_mov_b32_e32 v39, v48
.LBB6_18:
	s_cmp_lt_u32 s33, 2
	v_or_b32_e32 v33, s3, v45
	s_cselect_b32 s2, -1, 0
	s_mov_b32 s0, -1
	s_and_b32 vcc_lo, exec_lo, s2
	s_cbranch_vccz .LBB6_37
; %bb.19:
	s_mov_b32 s0, exec_lo
	v_cmpx_gt_i32_e64 s21, v33
	s_cbranch_execz .LBB6_36
; %bb.20:
	v_ashrrev_i32_e32 v34, 31, v33
	v_or_b32_e32 v36, v39, v46
	s_mov_b32 s1, exec_lo
	s_delay_alu instid0(VALU_DEP_2) | instskip(NEXT) | instid1(VALU_DEP_2)
	v_lshlrev_b64 v[34:35], 1, v[33:34]
	v_cmpx_gt_i32_e64 s20, v36
	s_cbranch_execz .LBB6_22
; %bb.21:
	v_mul_lo_u32 v37, v36, s21
	v_cvt_f16_f32_e32 v40, v25
	s_delay_alu instid0(VALU_DEP_2) | instskip(NEXT) | instid1(VALU_DEP_1)
	v_ashrrev_i32_e32 v38, 31, v37
	v_lshlrev_b64 v[37:38], 1, v[37:38]
	s_waitcnt lgkmcnt(0)
	s_delay_alu instid0(VALU_DEP_1) | instskip(NEXT) | instid1(VALU_DEP_2)
	v_add_co_u32 v37, vcc_lo, s28, v37
	v_add_co_ci_u32_e32 v38, vcc_lo, s29, v38, vcc_lo
	s_delay_alu instid0(VALU_DEP_2) | instskip(NEXT) | instid1(VALU_DEP_2)
	v_add_co_u32 v37, vcc_lo, v37, v34
	v_add_co_ci_u32_e32 v38, vcc_lo, v38, v35, vcc_lo
	global_store_b16 v[37:38], v40, off
.LBB6_22:
	s_or_b32 exec_lo, exec_lo, s1
	v_or_b32_e32 v37, 2, v36
	s_mov_b32 s1, exec_lo
	s_delay_alu instid0(VALU_DEP_1)
	v_cmpx_gt_i32_e64 s20, v37
	s_cbranch_execz .LBB6_24
; %bb.23:
	v_mul_lo_u32 v37, v37, s21
	v_cvt_f16_f32_e32 v40, v26
	s_delay_alu instid0(VALU_DEP_2) | instskip(NEXT) | instid1(VALU_DEP_1)
	v_ashrrev_i32_e32 v38, 31, v37
	v_lshlrev_b64 v[37:38], 1, v[37:38]
	s_waitcnt lgkmcnt(0)
	s_delay_alu instid0(VALU_DEP_1) | instskip(NEXT) | instid1(VALU_DEP_2)
	v_add_co_u32 v37, vcc_lo, s28, v37
	v_add_co_ci_u32_e32 v38, vcc_lo, s29, v38, vcc_lo
	s_delay_alu instid0(VALU_DEP_2) | instskip(NEXT) | instid1(VALU_DEP_2)
	v_add_co_u32 v37, vcc_lo, v37, v34
	v_add_co_ci_u32_e32 v38, vcc_lo, v38, v35, vcc_lo
	global_store_b16 v[37:38], v40, off
.LBB6_24:
	s_or_b32 exec_lo, exec_lo, s1
	v_or_b32_e32 v37, 4, v36
	s_mov_b32 s1, exec_lo
	s_delay_alu instid0(VALU_DEP_1)
	;; [unrolled: 21-line block ×6, first 2 shown]
	v_cmpx_gt_i32_e64 s20, v37
	s_cbranch_execz .LBB6_34
; %bb.33:
	v_mul_lo_u32 v37, v37, s21
	v_cvt_f16_f32_e32 v40, v31
	s_delay_alu instid0(VALU_DEP_2) | instskip(NEXT) | instid1(VALU_DEP_1)
	v_ashrrev_i32_e32 v38, 31, v37
	v_lshlrev_b64 v[37:38], 1, v[37:38]
	s_waitcnt lgkmcnt(0)
	s_delay_alu instid0(VALU_DEP_1) | instskip(NEXT) | instid1(VALU_DEP_2)
	v_add_co_u32 v37, vcc_lo, s28, v37
	v_add_co_ci_u32_e32 v38, vcc_lo, s29, v38, vcc_lo
	s_delay_alu instid0(VALU_DEP_2) | instskip(NEXT) | instid1(VALU_DEP_2)
	v_add_co_u32 v37, vcc_lo, v37, v34
	v_add_co_ci_u32_e32 v38, vcc_lo, v38, v35, vcc_lo
	global_store_b16 v[37:38], v40, off
.LBB6_34:
	s_or_b32 exec_lo, exec_lo, s1
	v_or_b32_e32 v36, 14, v36
	s_delay_alu instid0(VALU_DEP_1)
	v_cmp_gt_i32_e32 vcc_lo, s20, v36
	s_and_b32 exec_lo, exec_lo, vcc_lo
	s_cbranch_execz .LBB6_36
; %bb.35:
	v_mul_lo_u32 v36, v36, s21
	s_delay_alu instid0(VALU_DEP_1) | instskip(NEXT) | instid1(VALU_DEP_1)
	v_ashrrev_i32_e32 v37, 31, v36
	v_lshlrev_b64 v[36:37], 1, v[36:37]
	s_waitcnt lgkmcnt(0)
	s_delay_alu instid0(VALU_DEP_1) | instskip(NEXT) | instid1(VALU_DEP_2)
	v_add_co_u32 v36, vcc_lo, s28, v36
	v_add_co_ci_u32_e32 v37, vcc_lo, s29, v37, vcc_lo
	s_delay_alu instid0(VALU_DEP_2) | instskip(NEXT) | instid1(VALU_DEP_2)
	v_add_co_u32 v34, vcc_lo, v36, v34
	v_add_co_ci_u32_e32 v35, vcc_lo, v37, v35, vcc_lo
	v_cvt_f16_f32_e32 v36, v32
	global_store_b16 v[34:35], v36, off
.LBB6_36:
	s_or_b32 exec_lo, exec_lo, s0
	s_mov_b32 s0, 0
.LBB6_37:
	v_and_b32_e32 v0, 1, v0
	v_mbcnt_lo_u32_b32 v40, -1, 0
	s_and_not1_b32 vcc_lo, exec_lo, s0
	s_cbranch_vccnz .LBB6_71
; %bb.38:
	s_delay_alu instid0(VALU_DEP_1) | instskip(NEXT) | instid1(VALU_DEP_1)
	v_xor_b32_e32 v34, 1, v40
	v_cmp_gt_i32_e32 vcc_lo, 32, v34
	v_cndmask_b32_e32 v34, v40, v34, vcc_lo
	v_cmp_eq_u32_e32 vcc_lo, 0, v0
	s_delay_alu instid0(VALU_DEP_2)
	v_lshlrev_b32_e32 v41, 2, v34
	v_ashrrev_i32_e32 v34, 31, v33
	ds_bpermute_b32 v37, v41, v25
	s_and_saveexec_b32 s4, vcc_lo
	s_cbranch_execz .LBB6_42
; %bb.39:
	v_or_b32_e32 v35, v39, v46
	v_cmp_gt_i32_e64 s1, s21, v33
	s_delay_alu instid0(VALU_DEP_2) | instskip(NEXT) | instid1(VALU_DEP_1)
	v_cmp_gt_i32_e64 s0, s20, v35
	s_and_b32 s0, s0, s1
	s_delay_alu instid0(SALU_CYCLE_1)
	s_and_b32 exec_lo, exec_lo, s0
	s_cbranch_execz .LBB6_42
; %bb.40:
	v_mul_lo_u32 v35, v35, s21
	v_lshlrev_b64 v[42:43], 1, v[33:34]
	v_cvt_f16_f32_e32 v25, v25
	s_waitcnt lgkmcnt(0)
	v_cvt_f16_f32_e32 v37, v37
	s_mov_b32 s1, 0
	s_delay_alu instid0(VALU_DEP_1) | instskip(SKIP_1) | instid1(VALU_DEP_1)
	v_pack_b32_f16 v25, v25, v37
	v_ashrrev_i32_e32 v36, 31, v35
	v_lshlrev_b64 v[35:36], 1, v[35:36]
	s_delay_alu instid0(VALU_DEP_1) | instskip(NEXT) | instid1(VALU_DEP_1)
	v_add_co_u32 v35, s0, s28, v35
	v_add_co_ci_u32_e64 v36, s0, s29, v36, s0
	s_delay_alu instid0(VALU_DEP_2) | instskip(NEXT) | instid1(VALU_DEP_1)
	v_add_co_u32 v35, s0, v35, v42
	v_add_co_ci_u32_e64 v36, s0, v36, v43, s0
	global_load_b32 v38, v[35:36], off
.LBB6_41:                               ; =>This Inner Loop Header: Depth=1
	s_waitcnt vmcnt(0)
	v_pk_add_f16 v37, v25, v38
	global_atomic_cmpswap_b32 v37, v[35:36], v[37:38], off glc
	s_waitcnt vmcnt(0)
	v_cmp_eq_u32_e64 s0, v37, v38
	v_mov_b32_e32 v38, v37
	s_delay_alu instid0(VALU_DEP_2) | instskip(NEXT) | instid1(SALU_CYCLE_1)
	s_or_b32 s1, s0, s1
	s_and_not1_b32 exec_lo, exec_lo, s1
	s_cbranch_execnz .LBB6_41
.LBB6_42:
	s_or_b32 exec_lo, exec_lo, s4
	ds_bpermute_b32 v25, v41, v26
	s_and_saveexec_b32 s4, vcc_lo
	s_cbranch_execz .LBB6_46
; %bb.43:
	v_or3_b32 v35, v46, v39, 2
	v_cmp_gt_i32_e64 s1, s21, v33
	s_delay_alu instid0(VALU_DEP_2) | instskip(NEXT) | instid1(VALU_DEP_1)
	v_cmp_gt_i32_e64 s0, s20, v35
	s_and_b32 s0, s0, s1
	s_delay_alu instid0(SALU_CYCLE_1)
	s_and_b32 exec_lo, exec_lo, s0
	s_cbranch_execz .LBB6_46
; %bb.44:
	v_mul_lo_u32 v35, v35, s21
	s_waitcnt lgkmcnt(0)
	v_lshlrev_b64 v[37:38], 1, v[33:34]
	v_cvt_f16_f32_e32 v26, v26
	v_cvt_f16_f32_e32 v25, v25
	s_mov_b32 s1, 0
	s_delay_alu instid0(VALU_DEP_1) | instskip(SKIP_1) | instid1(VALU_DEP_1)
	v_pack_b32_f16 v25, v26, v25
	v_ashrrev_i32_e32 v36, 31, v35
	v_lshlrev_b64 v[35:36], 1, v[35:36]
	s_delay_alu instid0(VALU_DEP_1) | instskip(NEXT) | instid1(VALU_DEP_1)
	v_add_co_u32 v35, s0, s28, v35
	v_add_co_ci_u32_e64 v36, s0, s29, v36, s0
	s_delay_alu instid0(VALU_DEP_2) | instskip(NEXT) | instid1(VALU_DEP_1)
	v_add_co_u32 v35, s0, v35, v37
	v_add_co_ci_u32_e64 v36, s0, v36, v38, s0
	global_load_b32 v38, v[35:36], off
.LBB6_45:                               ; =>This Inner Loop Header: Depth=1
	s_waitcnt vmcnt(0)
	v_pk_add_f16 v37, v25, v38
	global_atomic_cmpswap_b32 v26, v[35:36], v[37:38], off glc
	s_waitcnt vmcnt(0)
	v_cmp_eq_u32_e64 s0, v26, v38
	v_mov_b32_e32 v38, v26
	s_delay_alu instid0(VALU_DEP_2) | instskip(NEXT) | instid1(SALU_CYCLE_1)
	s_or_b32 s1, s0, s1
	s_and_not1_b32 exec_lo, exec_lo, s1
	s_cbranch_execnz .LBB6_45
.LBB6_46:
	s_or_b32 exec_lo, exec_lo, s4
	ds_bpermute_b32 v35, v41, v27
	s_and_saveexec_b32 s4, vcc_lo
	s_cbranch_execz .LBB6_50
; %bb.47:
	s_waitcnt lgkmcnt(0)
	v_or3_b32 v25, v46, v39, 4
	v_cmp_gt_i32_e64 s1, s21, v33
	s_delay_alu instid0(VALU_DEP_2) | instskip(NEXT) | instid1(VALU_DEP_1)
	v_cmp_gt_i32_e64 s0, s20, v25
	s_and_b32 s0, s0, s1
	s_delay_alu instid0(SALU_CYCLE_1)
	s_and_b32 exec_lo, exec_lo, s0
	s_cbranch_execz .LBB6_50
; %bb.48:
	v_mul_lo_u32 v25, v25, s21
	v_lshlrev_b64 v[36:37], 1, v[33:34]
	v_cvt_f16_f32_e32 v27, v27
	v_cvt_f16_f32_e32 v35, v35
	s_mov_b32 s1, 0
	s_delay_alu instid0(VALU_DEP_1) | instskip(SKIP_1) | instid1(VALU_DEP_1)
	v_pack_b32_f16 v27, v27, v35
	v_ashrrev_i32_e32 v26, 31, v25
	v_lshlrev_b64 v[25:26], 1, v[25:26]
	s_delay_alu instid0(VALU_DEP_1) | instskip(NEXT) | instid1(VALU_DEP_1)
	v_add_co_u32 v25, s0, s28, v25
	v_add_co_ci_u32_e64 v26, s0, s29, v26, s0
	s_delay_alu instid0(VALU_DEP_2) | instskip(NEXT) | instid1(VALU_DEP_1)
	v_add_co_u32 v25, s0, v25, v36
	v_add_co_ci_u32_e64 v26, s0, v26, v37, s0
	global_load_b32 v36, v[25:26], off
.LBB6_49:                               ; =>This Inner Loop Header: Depth=1
	s_waitcnt vmcnt(0)
	v_pk_add_f16 v35, v27, v36
	global_atomic_cmpswap_b32 v35, v[25:26], v[35:36], off glc
	s_waitcnt vmcnt(0)
	v_cmp_eq_u32_e64 s0, v35, v36
	v_mov_b32_e32 v36, v35
	s_delay_alu instid0(VALU_DEP_2) | instskip(NEXT) | instid1(SALU_CYCLE_1)
	s_or_b32 s1, s0, s1
	s_and_not1_b32 exec_lo, exec_lo, s1
	s_cbranch_execnz .LBB6_49
.LBB6_50:
	s_or_b32 exec_lo, exec_lo, s4
	ds_bpermute_b32 v27, v41, v28
	s_and_saveexec_b32 s4, vcc_lo
	s_cbranch_execz .LBB6_54
; %bb.51:
	s_waitcnt lgkmcnt(0)
	v_or3_b32 v25, v46, v39, 6
	v_cmp_gt_i32_e64 s1, s21, v33
	s_delay_alu instid0(VALU_DEP_2) | instskip(NEXT) | instid1(VALU_DEP_1)
	v_cmp_gt_i32_e64 s0, s20, v25
	s_and_b32 s0, s0, s1
	s_delay_alu instid0(SALU_CYCLE_1)
	s_and_b32 exec_lo, exec_lo, s0
	s_cbranch_execz .LBB6_54
; %bb.52:
	v_mul_lo_u32 v25, v25, s21
	v_lshlrev_b64 v[35:36], 1, v[33:34]
	v_cvt_f16_f32_e32 v28, v28
	v_cvt_f16_f32_e32 v27, v27
	s_mov_b32 s1, 0
	s_delay_alu instid0(VALU_DEP_1) | instskip(SKIP_1) | instid1(VALU_DEP_1)
	v_pack_b32_f16 v27, v28, v27
	v_ashrrev_i32_e32 v26, 31, v25
	v_lshlrev_b64 v[25:26], 1, v[25:26]
	s_delay_alu instid0(VALU_DEP_1) | instskip(NEXT) | instid1(VALU_DEP_1)
	v_add_co_u32 v25, s0, s28, v25
	v_add_co_ci_u32_e64 v26, s0, s29, v26, s0
	s_delay_alu instid0(VALU_DEP_2) | instskip(NEXT) | instid1(VALU_DEP_1)
	v_add_co_u32 v25, s0, v25, v35
	v_add_co_ci_u32_e64 v26, s0, v26, v36, s0
	global_load_b32 v36, v[25:26], off
.LBB6_53:                               ; =>This Inner Loop Header: Depth=1
	s_waitcnt vmcnt(0)
	v_pk_add_f16 v35, v27, v36
	global_atomic_cmpswap_b32 v28, v[25:26], v[35:36], off glc
	s_waitcnt vmcnt(0)
	v_cmp_eq_u32_e64 s0, v28, v36
	v_mov_b32_e32 v36, v28
	s_delay_alu instid0(VALU_DEP_2) | instskip(NEXT) | instid1(SALU_CYCLE_1)
	s_or_b32 s1, s0, s1
	s_and_not1_b32 exec_lo, exec_lo, s1
	s_cbranch_execnz .LBB6_53
.LBB6_54:
	s_or_b32 exec_lo, exec_lo, s4
	s_waitcnt lgkmcnt(0)
	ds_bpermute_b32 v27, v41, v29
	s_and_saveexec_b32 s4, vcc_lo
	s_cbranch_execz .LBB6_58
; %bb.55:
	v_or3_b32 v25, v46, v39, 8
	v_cmp_gt_i32_e64 s1, s21, v33
	s_delay_alu instid0(VALU_DEP_2) | instskip(NEXT) | instid1(VALU_DEP_1)
	v_cmp_gt_i32_e64 s0, s20, v25
	s_and_b32 s0, s0, s1
	s_delay_alu instid0(SALU_CYCLE_1)
	s_and_b32 exec_lo, exec_lo, s0
	s_cbranch_execz .LBB6_58
; %bb.56:
	v_mul_lo_u32 v25, v25, s21
	v_lshlrev_b64 v[35:36], 1, v[33:34]
	v_cvt_f16_f32_e32 v29, v29
	s_waitcnt lgkmcnt(0)
	v_cvt_f16_f32_e32 v27, v27
	s_mov_b32 s1, 0
	s_delay_alu instid0(VALU_DEP_1) | instskip(SKIP_1) | instid1(VALU_DEP_1)
	v_pack_b32_f16 v29, v29, v27
	v_ashrrev_i32_e32 v26, 31, v25
	v_lshlrev_b64 v[25:26], 1, v[25:26]
	s_delay_alu instid0(VALU_DEP_1) | instskip(NEXT) | instid1(VALU_DEP_1)
	v_add_co_u32 v25, s0, s28, v25
	v_add_co_ci_u32_e64 v26, s0, s29, v26, s0
	s_delay_alu instid0(VALU_DEP_2) | instskip(NEXT) | instid1(VALU_DEP_1)
	v_add_co_u32 v25, s0, v25, v35
	v_add_co_ci_u32_e64 v26, s0, v26, v36, s0
	global_load_b32 v28, v[25:26], off
.LBB6_57:                               ; =>This Inner Loop Header: Depth=1
	s_waitcnt vmcnt(0)
	v_pk_add_f16 v27, v29, v28
	global_atomic_cmpswap_b32 v27, v[25:26], v[27:28], off glc
	s_waitcnt vmcnt(0)
	v_cmp_eq_u32_e64 s0, v27, v28
	v_mov_b32_e32 v28, v27
	s_delay_alu instid0(VALU_DEP_2) | instskip(NEXT) | instid1(SALU_CYCLE_1)
	s_or_b32 s1, s0, s1
	s_and_not1_b32 exec_lo, exec_lo, s1
	s_cbranch_execnz .LBB6_57
.LBB6_58:
	s_or_b32 exec_lo, exec_lo, s4
	s_waitcnt lgkmcnt(0)
	ds_bpermute_b32 v27, v41, v30
	s_and_saveexec_b32 s4, vcc_lo
	s_cbranch_execz .LBB6_62
; %bb.59:
	v_or3_b32 v25, v46, v39, 10
	v_cmp_gt_i32_e64 s1, s21, v33
	s_delay_alu instid0(VALU_DEP_2) | instskip(NEXT) | instid1(VALU_DEP_1)
	v_cmp_gt_i32_e64 s0, s20, v25
	s_and_b32 s0, s0, s1
	s_delay_alu instid0(SALU_CYCLE_1)
	s_and_b32 exec_lo, exec_lo, s0
	s_cbranch_execz .LBB6_62
; %bb.60:
	v_mul_lo_u32 v25, v25, s21
	v_lshlrev_b64 v[28:29], 1, v[33:34]
	s_waitcnt lgkmcnt(0)
	v_cvt_f16_f32_e32 v27, v27
	s_mov_b32 s1, 0
	s_delay_alu instid0(VALU_DEP_3) | instskip(NEXT) | instid1(VALU_DEP_1)
	v_ashrrev_i32_e32 v26, 31, v25
	v_lshlrev_b64 v[25:26], 1, v[25:26]
	s_delay_alu instid0(VALU_DEP_1) | instskip(NEXT) | instid1(VALU_DEP_1)
	v_add_co_u32 v25, s0, s28, v25
	v_add_co_ci_u32_e64 v26, s0, s29, v26, s0
	s_delay_alu instid0(VALU_DEP_2) | instskip(NEXT) | instid1(VALU_DEP_1)
	v_add_co_u32 v25, s0, v25, v28
	v_add_co_ci_u32_e64 v26, s0, v26, v29, s0
	v_cvt_f16_f32_e32 v29, v30
	global_load_b32 v28, v[25:26], off
	v_pack_b32_f16 v29, v29, v27
.LBB6_61:                               ; =>This Inner Loop Header: Depth=1
	s_waitcnt vmcnt(0)
	s_delay_alu instid0(VALU_DEP_1) | instskip(SKIP_4) | instid1(VALU_DEP_2)
	v_pk_add_f16 v27, v29, v28
	global_atomic_cmpswap_b32 v27, v[25:26], v[27:28], off glc
	s_waitcnt vmcnt(0)
	v_cmp_eq_u32_e64 s0, v27, v28
	v_mov_b32_e32 v28, v27
	s_or_b32 s1, s0, s1
	s_delay_alu instid0(SALU_CYCLE_1)
	s_and_not1_b32 exec_lo, exec_lo, s1
	s_cbranch_execnz .LBB6_61
.LBB6_62:
	s_or_b32 exec_lo, exec_lo, s4
	s_waitcnt lgkmcnt(0)
	ds_bpermute_b32 v27, v41, v31
	s_and_saveexec_b32 s4, vcc_lo
	s_cbranch_execz .LBB6_66
; %bb.63:
	v_or3_b32 v25, v46, v39, 12
	v_cmp_gt_i32_e64 s1, s21, v33
	s_delay_alu instid0(VALU_DEP_2) | instskip(NEXT) | instid1(VALU_DEP_1)
	v_cmp_gt_i32_e64 s0, s20, v25
	s_and_b32 s0, s0, s1
	s_delay_alu instid0(SALU_CYCLE_1)
	s_and_b32 exec_lo, exec_lo, s0
	s_cbranch_execz .LBB6_66
; %bb.64:
	v_mul_lo_u32 v25, v25, s21
	v_lshlrev_b64 v[28:29], 1, v[33:34]
	s_waitcnt lgkmcnt(0)
	v_cvt_f16_f32_e32 v27, v27
	s_mov_b32 s1, 0
	s_delay_alu instid0(VALU_DEP_3) | instskip(NEXT) | instid1(VALU_DEP_1)
	v_ashrrev_i32_e32 v26, 31, v25
	v_lshlrev_b64 v[25:26], 1, v[25:26]
	s_delay_alu instid0(VALU_DEP_1) | instskip(NEXT) | instid1(VALU_DEP_1)
	v_add_co_u32 v25, s0, s28, v25
	v_add_co_ci_u32_e64 v26, s0, s29, v26, s0
	s_delay_alu instid0(VALU_DEP_2) | instskip(NEXT) | instid1(VALU_DEP_1)
	v_add_co_u32 v25, s0, v25, v28
	v_add_co_ci_u32_e64 v26, s0, v26, v29, s0
	v_cvt_f16_f32_e32 v29, v31
	global_load_b32 v28, v[25:26], off
	v_pack_b32_f16 v29, v29, v27
.LBB6_65:                               ; =>This Inner Loop Header: Depth=1
	s_waitcnt vmcnt(0)
	s_delay_alu instid0(VALU_DEP_1) | instskip(SKIP_4) | instid1(VALU_DEP_2)
	v_pk_add_f16 v27, v29, v28
	global_atomic_cmpswap_b32 v27, v[25:26], v[27:28], off glc
	s_waitcnt vmcnt(0)
	v_cmp_eq_u32_e64 s0, v27, v28
	v_mov_b32_e32 v28, v27
	s_or_b32 s1, s0, s1
	s_delay_alu instid0(SALU_CYCLE_1)
	s_and_not1_b32 exec_lo, exec_lo, s1
	s_cbranch_execnz .LBB6_65
.LBB6_66:
	s_or_b32 exec_lo, exec_lo, s4
	s_waitcnt lgkmcnt(0)
	ds_bpermute_b32 v27, v41, v32
	s_and_saveexec_b32 s1, vcc_lo
	s_cbranch_execz .LBB6_70
; %bb.67:
	v_or3_b32 v25, v46, v39, 14
	v_cmp_gt_i32_e64 s0, s21, v33
	s_delay_alu instid0(VALU_DEP_2) | instskip(NEXT) | instid1(VALU_DEP_2)
	v_cmp_gt_i32_e32 vcc_lo, s20, v25
	s_and_b32 s0, vcc_lo, s0
	s_delay_alu instid0(SALU_CYCLE_1)
	s_and_b32 exec_lo, exec_lo, s0
	s_cbranch_execz .LBB6_70
; %bb.68:
	v_mul_lo_u32 v25, v25, s21
	v_lshlrev_b64 v[28:29], 1, v[33:34]
	s_waitcnt lgkmcnt(0)
	v_cvt_f16_f32_e32 v27, v27
	s_mov_b32 s0, 0
	s_delay_alu instid0(VALU_DEP_3) | instskip(NEXT) | instid1(VALU_DEP_1)
	v_ashrrev_i32_e32 v26, 31, v25
	v_lshlrev_b64 v[25:26], 1, v[25:26]
	s_delay_alu instid0(VALU_DEP_1) | instskip(NEXT) | instid1(VALU_DEP_2)
	v_add_co_u32 v25, vcc_lo, s28, v25
	v_add_co_ci_u32_e32 v26, vcc_lo, s29, v26, vcc_lo
	s_delay_alu instid0(VALU_DEP_2) | instskip(NEXT) | instid1(VALU_DEP_2)
	v_add_co_u32 v25, vcc_lo, v25, v28
	v_add_co_ci_u32_e32 v26, vcc_lo, v26, v29, vcc_lo
	v_cvt_f16_f32_e32 v29, v32
	global_load_b32 v28, v[25:26], off
	v_pack_b32_f16 v29, v29, v27
.LBB6_69:                               ; =>This Inner Loop Header: Depth=1
	s_waitcnt vmcnt(0)
	s_delay_alu instid0(VALU_DEP_1)
	v_pk_add_f16 v27, v29, v28
	global_atomic_cmpswap_b32 v27, v[25:26], v[27:28], off glc
	s_waitcnt vmcnt(0)
	v_cmp_eq_u32_e32 vcc_lo, v27, v28
	v_mov_b32_e32 v28, v27
	s_or_b32 s0, vcc_lo, s0
	s_delay_alu instid0(SALU_CYCLE_1)
	s_and_not1_b32 exec_lo, exec_lo, s0
	s_cbranch_execnz .LBB6_69
.LBB6_70:
	s_or_b32 exec_lo, exec_lo, s1
.LBB6_71:
	s_or_b32 s0, s3, 16
	s_and_b32 vcc_lo, exec_lo, s2
	v_or_b32_e32 v29, s0, v45
	s_mov_b32 s1, -1
	s_delay_alu instid0(VALU_DEP_1)
	v_cmp_gt_i32_e64 s0, s21, v29
	s_cbranch_vccz .LBB6_90
; %bb.72:
	s_delay_alu instid0(VALU_DEP_1)
	s_and_saveexec_b32 s1, s0
	s_cbranch_execz .LBB6_89
; %bb.73:
	v_or_b32_e32 v25, v39, v46
	s_mov_b32 s0, exec_lo
	s_delay_alu instid0(VALU_DEP_1)
	v_cmpx_gt_i32_e64 s20, v25
	s_cbranch_execz .LBB6_75
; %bb.74:
	v_mul_lo_u32 v26, v25, s21
	s_ashr_i32 s4, s3, 31
	v_add_co_u32 v30, s5, s3, v45
	s_delay_alu instid0(VALU_DEP_1) | instskip(SKIP_2) | instid1(VALU_DEP_4)
	v_add_co_ci_u32_e64 v31, null, s4, 0, s5
	v_cvt_f16_f32_e32 v28, v17
	s_waitcnt lgkmcnt(0)
	v_ashrrev_i32_e32 v27, 31, v26
	s_delay_alu instid0(VALU_DEP_3) | instskip(NEXT) | instid1(VALU_DEP_2)
	v_lshlrev_b64 v[30:31], 1, v[30:31]
	v_lshlrev_b64 v[26:27], 1, v[26:27]
	s_delay_alu instid0(VALU_DEP_1) | instskip(NEXT) | instid1(VALU_DEP_2)
	v_add_co_u32 v26, vcc_lo, s28, v26
	v_add_co_ci_u32_e32 v27, vcc_lo, s29, v27, vcc_lo
	s_delay_alu instid0(VALU_DEP_2) | instskip(NEXT) | instid1(VALU_DEP_2)
	v_add_co_u32 v26, vcc_lo, v26, v30
	v_add_co_ci_u32_e32 v27, vcc_lo, v27, v31, vcc_lo
	global_store_b16 v[26:27], v28, off offset:32
.LBB6_75:
	s_or_b32 exec_lo, exec_lo, s0
	v_or_b32_e32 v26, 2, v25
	s_mov_b32 s0, exec_lo
	s_delay_alu instid0(VALU_DEP_1)
	v_cmpx_gt_i32_e64 s20, v26
	s_cbranch_execz .LBB6_77
; %bb.76:
	v_mul_lo_u32 v26, v26, s21
	s_ashr_i32 s4, s3, 31
	v_add_co_u32 v30, s5, s3, v45
	s_delay_alu instid0(VALU_DEP_1) | instskip(SKIP_2) | instid1(VALU_DEP_4)
	v_add_co_ci_u32_e64 v31, null, s4, 0, s5
	v_cvt_f16_f32_e32 v28, v18
	s_waitcnt lgkmcnt(0)
	v_ashrrev_i32_e32 v27, 31, v26
	s_delay_alu instid0(VALU_DEP_3) | instskip(NEXT) | instid1(VALU_DEP_2)
	v_lshlrev_b64 v[30:31], 1, v[30:31]
	v_lshlrev_b64 v[26:27], 1, v[26:27]
	s_delay_alu instid0(VALU_DEP_1) | instskip(NEXT) | instid1(VALU_DEP_2)
	v_add_co_u32 v26, vcc_lo, s28, v26
	v_add_co_ci_u32_e32 v27, vcc_lo, s29, v27, vcc_lo
	s_delay_alu instid0(VALU_DEP_2) | instskip(NEXT) | instid1(VALU_DEP_2)
	v_add_co_u32 v26, vcc_lo, v26, v30
	v_add_co_ci_u32_e32 v27, vcc_lo, v27, v31, vcc_lo
	global_store_b16 v[26:27], v28, off offset:32
.LBB6_77:
	s_or_b32 exec_lo, exec_lo, s0
	;; [unrolled: 26-line block ×7, first 2 shown]
	v_or_b32_e32 v25, 14, v25
	s_delay_alu instid0(VALU_DEP_1)
	v_cmp_gt_i32_e32 vcc_lo, s20, v25
	s_and_b32 exec_lo, exec_lo, vcc_lo
	s_cbranch_execz .LBB6_89
; %bb.88:
	v_mul_lo_u32 v25, v25, s21
	s_ashr_i32 s0, s3, 31
	s_waitcnt lgkmcnt(0)
	v_add_co_u32 v27, s4, s3, v45
	s_delay_alu instid0(VALU_DEP_1) | instskip(NEXT) | instid1(VALU_DEP_3)
	v_add_co_ci_u32_e64 v28, null, s0, 0, s4
	v_ashrrev_i32_e32 v26, 31, v25
	s_delay_alu instid0(VALU_DEP_2) | instskip(NEXT) | instid1(VALU_DEP_2)
	v_lshlrev_b64 v[27:28], 1, v[27:28]
	v_lshlrev_b64 v[25:26], 1, v[25:26]
	s_delay_alu instid0(VALU_DEP_1) | instskip(NEXT) | instid1(VALU_DEP_2)
	v_add_co_u32 v25, vcc_lo, s28, v25
	v_add_co_ci_u32_e32 v26, vcc_lo, s29, v26, vcc_lo
	s_delay_alu instid0(VALU_DEP_2) | instskip(NEXT) | instid1(VALU_DEP_2)
	v_add_co_u32 v25, vcc_lo, v25, v27
	v_add_co_ci_u32_e32 v26, vcc_lo, v26, v28, vcc_lo
	v_cvt_f16_f32_e32 v27, v24
	global_store_b16 v[25:26], v27, off offset:32
.LBB6_89:
	s_or_b32 exec_lo, exec_lo, s1
	s_mov_b32 s1, 0
.LBB6_90:
	s_delay_alu instid0(SALU_CYCLE_1)
	s_and_not1_b32 vcc_lo, exec_lo, s1
	s_cbranch_vccnz .LBB6_124
; %bb.91:
	v_xor_b32_e32 v25, 1, v40
	s_delay_alu instid0(VALU_DEP_1) | instskip(SKIP_2) | instid1(VALU_DEP_2)
	v_cmp_gt_i32_e32 vcc_lo, 32, v25
	v_cndmask_b32_e32 v25, v40, v25, vcc_lo
	v_cmp_eq_u32_e32 vcc_lo, 0, v0
	v_lshlrev_b32_e32 v30, 2, v25
	s_waitcnt lgkmcnt(0)
	ds_bpermute_b32 v27, v30, v17
	s_and_saveexec_b32 s4, vcc_lo
	s_cbranch_execz .LBB6_95
; %bb.92:
	v_or_b32_e32 v25, v39, v46
	v_cmp_gt_i32_e64 s1, s21, v29
	s_delay_alu instid0(VALU_DEP_2) | instskip(NEXT) | instid1(VALU_DEP_1)
	v_cmp_gt_i32_e64 s0, s20, v25
	s_and_b32 s0, s0, s1
	s_delay_alu instid0(SALU_CYCLE_1)
	s_and_b32 exec_lo, exec_lo, s0
	s_cbranch_execz .LBB6_95
; %bb.93:
	v_mul_lo_u32 v25, v25, s21
	s_ashr_i32 s0, s3, 31
	v_add_co_u32 v31, s1, s3, v45
	s_delay_alu instid0(VALU_DEP_1)
	v_add_co_ci_u32_e64 v32, null, s0, 0, s1
	v_cvt_f16_f32_e32 v17, v17
	s_waitcnt lgkmcnt(0)
	v_cvt_f16_f32_e32 v27, v27
	v_ashrrev_i32_e32 v26, 31, v25
	v_lshlrev_b64 v[31:32], 1, v[31:32]
	s_mov_b32 s1, 0
	s_delay_alu instid0(VALU_DEP_3) | instskip(NEXT) | instid1(VALU_DEP_3)
	v_pack_b32_f16 v17, v17, v27
	v_lshlrev_b64 v[25:26], 1, v[25:26]
	s_delay_alu instid0(VALU_DEP_1) | instskip(NEXT) | instid1(VALU_DEP_1)
	v_add_co_u32 v25, s0, s28, v25
	v_add_co_ci_u32_e64 v26, s0, s29, v26, s0
	s_delay_alu instid0(VALU_DEP_2) | instskip(NEXT) | instid1(VALU_DEP_1)
	v_add_co_u32 v25, s0, v25, v31
	v_add_co_ci_u32_e64 v26, s0, v26, v32, s0
	global_load_b32 v28, v[25:26], off offset:32
.LBB6_94:                               ; =>This Inner Loop Header: Depth=1
	s_waitcnt vmcnt(0)
	v_pk_add_f16 v27, v17, v28
	global_atomic_cmpswap_b32 v27, v[25:26], v[27:28], off offset:32 glc
	s_waitcnt vmcnt(0)
	v_cmp_eq_u32_e64 s0, v27, v28
	v_mov_b32_e32 v28, v27
	s_delay_alu instid0(VALU_DEP_2) | instskip(NEXT) | instid1(SALU_CYCLE_1)
	s_or_b32 s1, s0, s1
	s_and_not1_b32 exec_lo, exec_lo, s1
	s_cbranch_execnz .LBB6_94
.LBB6_95:
	s_or_b32 exec_lo, exec_lo, s4
	ds_bpermute_b32 v17, v30, v18
	s_and_saveexec_b32 s4, vcc_lo
	s_cbranch_execz .LBB6_99
; %bb.96:
	v_or3_b32 v25, v46, v39, 2
	v_cmp_gt_i32_e64 s1, s21, v29
	s_delay_alu instid0(VALU_DEP_2) | instskip(NEXT) | instid1(VALU_DEP_1)
	v_cmp_gt_i32_e64 s0, s20, v25
	s_and_b32 s0, s0, s1
	s_delay_alu instid0(SALU_CYCLE_1)
	s_and_b32 exec_lo, exec_lo, s0
	s_cbranch_execz .LBB6_99
; %bb.97:
	v_mul_lo_u32 v25, v25, s21
	s_ashr_i32 s0, s3, 31
	s_waitcnt lgkmcnt(1)
	v_add_co_u32 v27, s1, s3, v45
	s_delay_alu instid0(VALU_DEP_1)
	v_add_co_ci_u32_e64 v28, null, s0, 0, s1
	v_cvt_f16_f32_e32 v18, v18
	s_waitcnt lgkmcnt(0)
	v_cvt_f16_f32_e32 v17, v17
	v_ashrrev_i32_e32 v26, 31, v25
	v_lshlrev_b64 v[27:28], 1, v[27:28]
	s_mov_b32 s1, 0
	s_delay_alu instid0(VALU_DEP_3) | instskip(NEXT) | instid1(VALU_DEP_3)
	v_pack_b32_f16 v17, v18, v17
	v_lshlrev_b64 v[25:26], 1, v[25:26]
	s_delay_alu instid0(VALU_DEP_1) | instskip(NEXT) | instid1(VALU_DEP_1)
	v_add_co_u32 v25, s0, s28, v25
	v_add_co_ci_u32_e64 v26, s0, s29, v26, s0
	s_delay_alu instid0(VALU_DEP_2) | instskip(NEXT) | instid1(VALU_DEP_1)
	v_add_co_u32 v25, s0, v25, v27
	v_add_co_ci_u32_e64 v26, s0, v26, v28, s0
	global_load_b32 v28, v[25:26], off offset:32
.LBB6_98:                               ; =>This Inner Loop Header: Depth=1
	s_waitcnt vmcnt(0)
	v_pk_add_f16 v27, v17, v28
	global_atomic_cmpswap_b32 v18, v[25:26], v[27:28], off offset:32 glc
	s_waitcnt vmcnt(0)
	v_cmp_eq_u32_e64 s0, v18, v28
	v_mov_b32_e32 v28, v18
	s_delay_alu instid0(VALU_DEP_2) | instskip(NEXT) | instid1(SALU_CYCLE_1)
	s_or_b32 s1, s0, s1
	s_and_not1_b32 exec_lo, exec_lo, s1
	s_cbranch_execnz .LBB6_98
.LBB6_99:
	s_or_b32 exec_lo, exec_lo, s4
	ds_bpermute_b32 v25, v30, v19
	s_and_saveexec_b32 s4, vcc_lo
	s_cbranch_execz .LBB6_103
; %bb.100:
	s_waitcnt lgkmcnt(1)
	v_or3_b32 v17, v46, v39, 4
	v_cmp_gt_i32_e64 s1, s21, v29
	s_delay_alu instid0(VALU_DEP_2) | instskip(NEXT) | instid1(VALU_DEP_1)
	v_cmp_gt_i32_e64 s0, s20, v17
	s_and_b32 s0, s0, s1
	s_delay_alu instid0(SALU_CYCLE_1)
	s_and_b32 exec_lo, exec_lo, s0
	s_cbranch_execz .LBB6_103
; %bb.101:
	v_mul_lo_u32 v17, v17, s21
	s_ashr_i32 s0, s3, 31
	v_add_co_u32 v26, s1, s3, v45
	s_delay_alu instid0(VALU_DEP_1)
	v_add_co_ci_u32_e64 v27, null, s0, 0, s1
	v_cvt_f16_f32_e32 v19, v19
	s_waitcnt lgkmcnt(0)
	v_cvt_f16_f32_e32 v25, v25
	v_ashrrev_i32_e32 v18, 31, v17
	v_lshlrev_b64 v[26:27], 1, v[26:27]
	s_mov_b32 s1, 0
	s_delay_alu instid0(VALU_DEP_3) | instskip(NEXT) | instid1(VALU_DEP_3)
	v_pack_b32_f16 v19, v19, v25
	v_lshlrev_b64 v[17:18], 1, v[17:18]
	s_delay_alu instid0(VALU_DEP_1) | instskip(NEXT) | instid1(VALU_DEP_1)
	v_add_co_u32 v17, s0, s28, v17
	v_add_co_ci_u32_e64 v18, s0, s29, v18, s0
	s_delay_alu instid0(VALU_DEP_2) | instskip(NEXT) | instid1(VALU_DEP_1)
	v_add_co_u32 v17, s0, v17, v26
	v_add_co_ci_u32_e64 v18, s0, v18, v27, s0
	global_load_b32 v26, v[17:18], off offset:32
.LBB6_102:                              ; =>This Inner Loop Header: Depth=1
	s_waitcnt vmcnt(0)
	v_pk_add_f16 v25, v19, v26
	global_atomic_cmpswap_b32 v25, v[17:18], v[25:26], off offset:32 glc
	s_waitcnt vmcnt(0)
	v_cmp_eq_u32_e64 s0, v25, v26
	v_mov_b32_e32 v26, v25
	s_delay_alu instid0(VALU_DEP_2) | instskip(NEXT) | instid1(SALU_CYCLE_1)
	s_or_b32 s1, s0, s1
	s_and_not1_b32 exec_lo, exec_lo, s1
	s_cbranch_execnz .LBB6_102
.LBB6_103:
	s_or_b32 exec_lo, exec_lo, s4
	ds_bpermute_b32 v19, v30, v20
	s_and_saveexec_b32 s4, vcc_lo
	s_cbranch_execz .LBB6_107
; %bb.104:
	s_waitcnt lgkmcnt(2)
	v_or3_b32 v17, v46, v39, 6
	v_cmp_gt_i32_e64 s1, s21, v29
	s_delay_alu instid0(VALU_DEP_2) | instskip(NEXT) | instid1(VALU_DEP_1)
	v_cmp_gt_i32_e64 s0, s20, v17
	s_and_b32 s0, s0, s1
	s_delay_alu instid0(SALU_CYCLE_1)
	s_and_b32 exec_lo, exec_lo, s0
	s_cbranch_execz .LBB6_107
; %bb.105:
	v_mul_lo_u32 v17, v17, s21
	s_ashr_i32 s0, s3, 31
	s_waitcnt lgkmcnt(1)
	v_add_co_u32 v25, s1, s3, v45
	s_delay_alu instid0(VALU_DEP_1)
	v_add_co_ci_u32_e64 v26, null, s0, 0, s1
	v_cvt_f16_f32_e32 v20, v20
	s_waitcnt lgkmcnt(0)
	v_cvt_f16_f32_e32 v19, v19
	v_ashrrev_i32_e32 v18, 31, v17
	v_lshlrev_b64 v[25:26], 1, v[25:26]
	s_mov_b32 s1, 0
	s_delay_alu instid0(VALU_DEP_3) | instskip(NEXT) | instid1(VALU_DEP_3)
	v_pack_b32_f16 v19, v20, v19
	v_lshlrev_b64 v[17:18], 1, v[17:18]
	s_delay_alu instid0(VALU_DEP_1) | instskip(NEXT) | instid1(VALU_DEP_1)
	v_add_co_u32 v17, s0, s28, v17
	v_add_co_ci_u32_e64 v18, s0, s29, v18, s0
	s_delay_alu instid0(VALU_DEP_2) | instskip(NEXT) | instid1(VALU_DEP_1)
	v_add_co_u32 v17, s0, v17, v25
	v_add_co_ci_u32_e64 v18, s0, v18, v26, s0
	global_load_b32 v26, v[17:18], off offset:32
.LBB6_106:                              ; =>This Inner Loop Header: Depth=1
	s_waitcnt vmcnt(0)
	v_pk_add_f16 v25, v19, v26
	global_atomic_cmpswap_b32 v20, v[17:18], v[25:26], off offset:32 glc
	s_waitcnt vmcnt(0)
	v_cmp_eq_u32_e64 s0, v20, v26
	v_mov_b32_e32 v26, v20
	s_delay_alu instid0(VALU_DEP_2) | instskip(NEXT) | instid1(SALU_CYCLE_1)
	s_or_b32 s1, s0, s1
	s_and_not1_b32 exec_lo, exec_lo, s1
	s_cbranch_execnz .LBB6_106
.LBB6_107:
	s_or_b32 exec_lo, exec_lo, s4
	s_waitcnt lgkmcnt(0)
	ds_bpermute_b32 v19, v30, v21
	s_and_saveexec_b32 s4, vcc_lo
	s_cbranch_execz .LBB6_111
; %bb.108:
	v_or3_b32 v17, v46, v39, 8
	v_cmp_gt_i32_e64 s1, s21, v29
	s_delay_alu instid0(VALU_DEP_2) | instskip(NEXT) | instid1(VALU_DEP_1)
	v_cmp_gt_i32_e64 s0, s20, v17
	s_and_b32 s0, s0, s1
	s_delay_alu instid0(SALU_CYCLE_1)
	s_and_b32 exec_lo, exec_lo, s0
	s_cbranch_execz .LBB6_111
; %bb.109:
	v_mul_lo_u32 v17, v17, s21
	s_ashr_i32 s0, s3, 31
	v_add_co_u32 v25, s1, s3, v45
	s_delay_alu instid0(VALU_DEP_1)
	v_add_co_ci_u32_e64 v26, null, s0, 0, s1
	v_cvt_f16_f32_e32 v21, v21
	s_waitcnt lgkmcnt(0)
	v_cvt_f16_f32_e32 v19, v19
	v_ashrrev_i32_e32 v18, 31, v17
	v_lshlrev_b64 v[25:26], 1, v[25:26]
	s_mov_b32 s1, 0
	s_delay_alu instid0(VALU_DEP_3) | instskip(NEXT) | instid1(VALU_DEP_3)
	v_pack_b32_f16 v21, v21, v19
	v_lshlrev_b64 v[17:18], 1, v[17:18]
	s_delay_alu instid0(VALU_DEP_1) | instskip(NEXT) | instid1(VALU_DEP_1)
	v_add_co_u32 v17, s0, s28, v17
	v_add_co_ci_u32_e64 v18, s0, s29, v18, s0
	s_delay_alu instid0(VALU_DEP_2) | instskip(NEXT) | instid1(VALU_DEP_1)
	v_add_co_u32 v17, s0, v17, v25
	v_add_co_ci_u32_e64 v18, s0, v18, v26, s0
	global_load_b32 v20, v[17:18], off offset:32
.LBB6_110:                              ; =>This Inner Loop Header: Depth=1
	s_waitcnt vmcnt(0)
	v_pk_add_f16 v19, v21, v20
	global_atomic_cmpswap_b32 v19, v[17:18], v[19:20], off offset:32 glc
	s_waitcnt vmcnt(0)
	v_cmp_eq_u32_e64 s0, v19, v20
	v_mov_b32_e32 v20, v19
	s_delay_alu instid0(VALU_DEP_2) | instskip(NEXT) | instid1(SALU_CYCLE_1)
	s_or_b32 s1, s0, s1
	s_and_not1_b32 exec_lo, exec_lo, s1
	s_cbranch_execnz .LBB6_110
.LBB6_111:
	s_or_b32 exec_lo, exec_lo, s4
	s_waitcnt lgkmcnt(0)
	ds_bpermute_b32 v19, v30, v22
	s_and_saveexec_b32 s4, vcc_lo
	s_cbranch_execz .LBB6_115
; %bb.112:
	v_or3_b32 v17, v46, v39, 10
	v_cmp_gt_i32_e64 s1, s21, v29
	s_delay_alu instid0(VALU_DEP_2) | instskip(NEXT) | instid1(VALU_DEP_1)
	v_cmp_gt_i32_e64 s0, s20, v17
	s_and_b32 s0, s0, s1
	s_delay_alu instid0(SALU_CYCLE_1)
	s_and_b32 exec_lo, exec_lo, s0
	s_cbranch_execz .LBB6_115
; %bb.113:
	v_mul_lo_u32 v17, v17, s21
	s_ashr_i32 s0, s3, 31
	v_add_co_u32 v20, s1, s3, v45
	s_delay_alu instid0(VALU_DEP_1) | instskip(SKIP_3) | instid1(VALU_DEP_4)
	v_add_co_ci_u32_e64 v21, null, s0, 0, s1
	s_waitcnt lgkmcnt(0)
	v_cvt_f16_f32_e32 v19, v19
	s_mov_b32 s1, 0
	v_ashrrev_i32_e32 v18, 31, v17
	v_lshlrev_b64 v[20:21], 1, v[20:21]
	s_delay_alu instid0(VALU_DEP_2) | instskip(NEXT) | instid1(VALU_DEP_1)
	v_lshlrev_b64 v[17:18], 1, v[17:18]
	v_add_co_u32 v17, s0, s28, v17
	s_delay_alu instid0(VALU_DEP_1) | instskip(NEXT) | instid1(VALU_DEP_2)
	v_add_co_ci_u32_e64 v18, s0, s29, v18, s0
	v_add_co_u32 v17, s0, v17, v20
	s_delay_alu instid0(VALU_DEP_1)
	v_add_co_ci_u32_e64 v18, s0, v18, v21, s0
	v_cvt_f16_f32_e32 v21, v22
	global_load_b32 v20, v[17:18], off offset:32
	v_pack_b32_f16 v21, v21, v19
.LBB6_114:                              ; =>This Inner Loop Header: Depth=1
	s_waitcnt vmcnt(0)
	s_delay_alu instid0(VALU_DEP_1) | instskip(SKIP_4) | instid1(VALU_DEP_2)
	v_pk_add_f16 v19, v21, v20
	global_atomic_cmpswap_b32 v19, v[17:18], v[19:20], off offset:32 glc
	s_waitcnt vmcnt(0)
	v_cmp_eq_u32_e64 s0, v19, v20
	v_mov_b32_e32 v20, v19
	s_or_b32 s1, s0, s1
	s_delay_alu instid0(SALU_CYCLE_1)
	s_and_not1_b32 exec_lo, exec_lo, s1
	s_cbranch_execnz .LBB6_114
.LBB6_115:
	s_or_b32 exec_lo, exec_lo, s4
	s_waitcnt lgkmcnt(0)
	ds_bpermute_b32 v19, v30, v23
	s_and_saveexec_b32 s4, vcc_lo
	s_cbranch_execz .LBB6_119
; %bb.116:
	v_or3_b32 v17, v46, v39, 12
	v_cmp_gt_i32_e64 s1, s21, v29
	s_delay_alu instid0(VALU_DEP_2) | instskip(NEXT) | instid1(VALU_DEP_1)
	v_cmp_gt_i32_e64 s0, s20, v17
	s_and_b32 s0, s0, s1
	s_delay_alu instid0(SALU_CYCLE_1)
	s_and_b32 exec_lo, exec_lo, s0
	s_cbranch_execz .LBB6_119
; %bb.117:
	v_mul_lo_u32 v17, v17, s21
	s_ashr_i32 s0, s3, 31
	v_add_co_u32 v20, s1, s3, v45
	s_delay_alu instid0(VALU_DEP_1) | instskip(SKIP_3) | instid1(VALU_DEP_4)
	v_add_co_ci_u32_e64 v21, null, s0, 0, s1
	s_waitcnt lgkmcnt(0)
	v_cvt_f16_f32_e32 v19, v19
	s_mov_b32 s1, 0
	v_ashrrev_i32_e32 v18, 31, v17
	v_lshlrev_b64 v[20:21], 1, v[20:21]
	s_delay_alu instid0(VALU_DEP_2) | instskip(NEXT) | instid1(VALU_DEP_1)
	v_lshlrev_b64 v[17:18], 1, v[17:18]
	v_add_co_u32 v17, s0, s28, v17
	s_delay_alu instid0(VALU_DEP_1) | instskip(NEXT) | instid1(VALU_DEP_2)
	v_add_co_ci_u32_e64 v18, s0, s29, v18, s0
	v_add_co_u32 v17, s0, v17, v20
	s_delay_alu instid0(VALU_DEP_1)
	v_add_co_ci_u32_e64 v18, s0, v18, v21, s0
	v_cvt_f16_f32_e32 v21, v23
	global_load_b32 v20, v[17:18], off offset:32
	v_pack_b32_f16 v21, v21, v19
.LBB6_118:                              ; =>This Inner Loop Header: Depth=1
	s_waitcnt vmcnt(0)
	s_delay_alu instid0(VALU_DEP_1) | instskip(SKIP_4) | instid1(VALU_DEP_2)
	v_pk_add_f16 v19, v21, v20
	global_atomic_cmpswap_b32 v19, v[17:18], v[19:20], off offset:32 glc
	s_waitcnt vmcnt(0)
	v_cmp_eq_u32_e64 s0, v19, v20
	v_mov_b32_e32 v20, v19
	s_or_b32 s1, s0, s1
	s_delay_alu instid0(SALU_CYCLE_1)
	s_and_not1_b32 exec_lo, exec_lo, s1
	s_cbranch_execnz .LBB6_118
.LBB6_119:
	s_or_b32 exec_lo, exec_lo, s4
	s_waitcnt lgkmcnt(0)
	ds_bpermute_b32 v19, v30, v24
	s_and_saveexec_b32 s1, vcc_lo
	s_cbranch_execz .LBB6_123
; %bb.120:
	v_or3_b32 v17, v46, v39, 14
	v_cmp_gt_i32_e64 s0, s21, v29
	s_delay_alu instid0(VALU_DEP_2) | instskip(NEXT) | instid1(VALU_DEP_2)
	v_cmp_gt_i32_e32 vcc_lo, s20, v17
	s_and_b32 s0, vcc_lo, s0
	s_delay_alu instid0(SALU_CYCLE_1)
	s_and_b32 exec_lo, exec_lo, s0
	s_cbranch_execz .LBB6_123
; %bb.121:
	v_mul_lo_u32 v17, v17, s21
	s_ashr_i32 s0, s3, 31
	v_add_co_u32 v20, s4, s3, v45
	s_delay_alu instid0(VALU_DEP_1) | instskip(SKIP_3) | instid1(VALU_DEP_4)
	v_add_co_ci_u32_e64 v21, null, s0, 0, s4
	s_waitcnt lgkmcnt(0)
	v_cvt_f16_f32_e32 v19, v19
	s_mov_b32 s0, 0
	v_ashrrev_i32_e32 v18, 31, v17
	v_lshlrev_b64 v[20:21], 1, v[20:21]
	s_delay_alu instid0(VALU_DEP_2) | instskip(NEXT) | instid1(VALU_DEP_1)
	v_lshlrev_b64 v[17:18], 1, v[17:18]
	v_add_co_u32 v17, vcc_lo, s28, v17
	s_delay_alu instid0(VALU_DEP_2) | instskip(NEXT) | instid1(VALU_DEP_2)
	v_add_co_ci_u32_e32 v18, vcc_lo, s29, v18, vcc_lo
	v_add_co_u32 v17, vcc_lo, v17, v20
	s_delay_alu instid0(VALU_DEP_2)
	v_add_co_ci_u32_e32 v18, vcc_lo, v18, v21, vcc_lo
	v_cvt_f16_f32_e32 v21, v24
	global_load_b32 v20, v[17:18], off offset:32
	v_pack_b32_f16 v21, v21, v19
.LBB6_122:                              ; =>This Inner Loop Header: Depth=1
	s_waitcnt vmcnt(0)
	s_delay_alu instid0(VALU_DEP_1)
	v_pk_add_f16 v19, v21, v20
	global_atomic_cmpswap_b32 v19, v[17:18], v[19:20], off offset:32 glc
	s_waitcnt vmcnt(0)
	v_cmp_eq_u32_e32 vcc_lo, v19, v20
	v_mov_b32_e32 v20, v19
	s_or_b32 s0, vcc_lo, s0
	s_delay_alu instid0(SALU_CYCLE_1)
	s_and_not1_b32 exec_lo, exec_lo, s0
	s_cbranch_execnz .LBB6_122
.LBB6_123:
	s_or_b32 exec_lo, exec_lo, s1
.LBB6_124:
	s_or_b32 s0, s3, 32
	s_and_b32 vcc_lo, exec_lo, s2
	v_or_b32_e32 v21, s0, v45
	s_mov_b32 s1, -1
	s_delay_alu instid0(VALU_DEP_1)
	v_cmp_gt_i32_e64 s0, s21, v21
	s_cbranch_vccz .LBB6_143
; %bb.125:
	s_delay_alu instid0(VALU_DEP_1)
	s_and_saveexec_b32 s1, s0
	s_cbranch_execz .LBB6_142
; %bb.126:
	v_or_b32_e32 v17, v39, v46
	s_mov_b32 s0, exec_lo
	s_delay_alu instid0(VALU_DEP_1)
	v_cmpx_gt_i32_e64 s20, v17
	s_cbranch_execz .LBB6_128
; %bb.127:
	v_mul_lo_u32 v18, v17, s21
	s_ashr_i32 s4, s3, 31
	v_add_co_u32 v22, s5, s3, v45
	s_delay_alu instid0(VALU_DEP_1) | instskip(SKIP_2) | instid1(VALU_DEP_4)
	v_add_co_ci_u32_e64 v23, null, s4, 0, s5
	v_cvt_f16_f32_e32 v20, v9
	s_waitcnt lgkmcnt(0)
	v_ashrrev_i32_e32 v19, 31, v18
	s_delay_alu instid0(VALU_DEP_3) | instskip(NEXT) | instid1(VALU_DEP_2)
	v_lshlrev_b64 v[22:23], 1, v[22:23]
	v_lshlrev_b64 v[18:19], 1, v[18:19]
	s_delay_alu instid0(VALU_DEP_1) | instskip(NEXT) | instid1(VALU_DEP_2)
	v_add_co_u32 v18, vcc_lo, s28, v18
	v_add_co_ci_u32_e32 v19, vcc_lo, s29, v19, vcc_lo
	s_delay_alu instid0(VALU_DEP_2) | instskip(NEXT) | instid1(VALU_DEP_2)
	v_add_co_u32 v18, vcc_lo, v18, v22
	v_add_co_ci_u32_e32 v19, vcc_lo, v19, v23, vcc_lo
	global_store_b16 v[18:19], v20, off offset:64
.LBB6_128:
	s_or_b32 exec_lo, exec_lo, s0
	v_or_b32_e32 v18, 2, v17
	s_mov_b32 s0, exec_lo
	s_delay_alu instid0(VALU_DEP_1)
	v_cmpx_gt_i32_e64 s20, v18
	s_cbranch_execz .LBB6_130
; %bb.129:
	v_mul_lo_u32 v18, v18, s21
	s_ashr_i32 s4, s3, 31
	v_add_co_u32 v22, s5, s3, v45
	s_delay_alu instid0(VALU_DEP_1) | instskip(SKIP_2) | instid1(VALU_DEP_4)
	v_add_co_ci_u32_e64 v23, null, s4, 0, s5
	v_cvt_f16_f32_e32 v20, v10
	s_waitcnt lgkmcnt(0)
	v_ashrrev_i32_e32 v19, 31, v18
	s_delay_alu instid0(VALU_DEP_3) | instskip(NEXT) | instid1(VALU_DEP_2)
	v_lshlrev_b64 v[22:23], 1, v[22:23]
	v_lshlrev_b64 v[18:19], 1, v[18:19]
	s_delay_alu instid0(VALU_DEP_1) | instskip(NEXT) | instid1(VALU_DEP_2)
	v_add_co_u32 v18, vcc_lo, s28, v18
	v_add_co_ci_u32_e32 v19, vcc_lo, s29, v19, vcc_lo
	s_delay_alu instid0(VALU_DEP_2) | instskip(NEXT) | instid1(VALU_DEP_2)
	v_add_co_u32 v18, vcc_lo, v18, v22
	v_add_co_ci_u32_e32 v19, vcc_lo, v19, v23, vcc_lo
	global_store_b16 v[18:19], v20, off offset:64
.LBB6_130:
	s_or_b32 exec_lo, exec_lo, s0
	;; [unrolled: 26-line block ×7, first 2 shown]
	v_or_b32_e32 v17, 14, v17
	s_delay_alu instid0(VALU_DEP_1)
	v_cmp_gt_i32_e32 vcc_lo, s20, v17
	s_and_b32 exec_lo, exec_lo, vcc_lo
	s_cbranch_execz .LBB6_142
; %bb.141:
	v_mul_lo_u32 v17, v17, s21
	s_ashr_i32 s0, s3, 31
	s_waitcnt lgkmcnt(0)
	v_add_co_u32 v19, s4, s3, v45
	s_delay_alu instid0(VALU_DEP_1) | instskip(NEXT) | instid1(VALU_DEP_3)
	v_add_co_ci_u32_e64 v20, null, s0, 0, s4
	v_ashrrev_i32_e32 v18, 31, v17
	s_delay_alu instid0(VALU_DEP_2) | instskip(NEXT) | instid1(VALU_DEP_2)
	v_lshlrev_b64 v[19:20], 1, v[19:20]
	v_lshlrev_b64 v[17:18], 1, v[17:18]
	s_delay_alu instid0(VALU_DEP_1) | instskip(NEXT) | instid1(VALU_DEP_2)
	v_add_co_u32 v17, vcc_lo, s28, v17
	v_add_co_ci_u32_e32 v18, vcc_lo, s29, v18, vcc_lo
	s_delay_alu instid0(VALU_DEP_2) | instskip(NEXT) | instid1(VALU_DEP_2)
	v_add_co_u32 v17, vcc_lo, v17, v19
	v_add_co_ci_u32_e32 v18, vcc_lo, v18, v20, vcc_lo
	v_cvt_f16_f32_e32 v19, v16
	global_store_b16 v[17:18], v19, off offset:64
.LBB6_142:
	s_or_b32 exec_lo, exec_lo, s1
	s_mov_b32 s1, 0
.LBB6_143:
	s_delay_alu instid0(SALU_CYCLE_1)
	s_and_not1_b32 vcc_lo, exec_lo, s1
	s_cbranch_vccnz .LBB6_177
; %bb.144:
	v_xor_b32_e32 v17, 1, v40
	s_delay_alu instid0(VALU_DEP_1) | instskip(SKIP_2) | instid1(VALU_DEP_2)
	v_cmp_gt_i32_e32 vcc_lo, 32, v17
	v_cndmask_b32_e32 v17, v40, v17, vcc_lo
	v_cmp_eq_u32_e32 vcc_lo, 0, v0
	v_lshlrev_b32_e32 v22, 2, v17
	s_waitcnt lgkmcnt(0)
	ds_bpermute_b32 v19, v22, v9
	s_and_saveexec_b32 s4, vcc_lo
	s_cbranch_execz .LBB6_148
; %bb.145:
	v_or_b32_e32 v17, v39, v46
	v_cmp_gt_i32_e64 s1, s21, v21
	s_delay_alu instid0(VALU_DEP_2) | instskip(NEXT) | instid1(VALU_DEP_1)
	v_cmp_gt_i32_e64 s0, s20, v17
	s_and_b32 s0, s0, s1
	s_delay_alu instid0(SALU_CYCLE_1)
	s_and_b32 exec_lo, exec_lo, s0
	s_cbranch_execz .LBB6_148
; %bb.146:
	v_mul_lo_u32 v17, v17, s21
	s_ashr_i32 s0, s3, 31
	v_add_co_u32 v23, s1, s3, v45
	s_delay_alu instid0(VALU_DEP_1)
	v_add_co_ci_u32_e64 v24, null, s0, 0, s1
	v_cvt_f16_f32_e32 v9, v9
	s_waitcnt lgkmcnt(0)
	v_cvt_f16_f32_e32 v19, v19
	v_ashrrev_i32_e32 v18, 31, v17
	v_lshlrev_b64 v[23:24], 1, v[23:24]
	s_mov_b32 s1, 0
	s_delay_alu instid0(VALU_DEP_3) | instskip(NEXT) | instid1(VALU_DEP_3)
	v_pack_b32_f16 v9, v9, v19
	v_lshlrev_b64 v[17:18], 1, v[17:18]
	s_delay_alu instid0(VALU_DEP_1) | instskip(NEXT) | instid1(VALU_DEP_1)
	v_add_co_u32 v17, s0, s28, v17
	v_add_co_ci_u32_e64 v18, s0, s29, v18, s0
	s_delay_alu instid0(VALU_DEP_2) | instskip(NEXT) | instid1(VALU_DEP_1)
	v_add_co_u32 v17, s0, v17, v23
	v_add_co_ci_u32_e64 v18, s0, v18, v24, s0
	global_load_b32 v20, v[17:18], off offset:64
.LBB6_147:                              ; =>This Inner Loop Header: Depth=1
	s_waitcnt vmcnt(0)
	v_pk_add_f16 v19, v9, v20
	global_atomic_cmpswap_b32 v19, v[17:18], v[19:20], off offset:64 glc
	s_waitcnt vmcnt(0)
	v_cmp_eq_u32_e64 s0, v19, v20
	v_mov_b32_e32 v20, v19
	s_delay_alu instid0(VALU_DEP_2) | instskip(NEXT) | instid1(SALU_CYCLE_1)
	s_or_b32 s1, s0, s1
	s_and_not1_b32 exec_lo, exec_lo, s1
	s_cbranch_execnz .LBB6_147
.LBB6_148:
	s_or_b32 exec_lo, exec_lo, s4
	ds_bpermute_b32 v9, v22, v10
	s_and_saveexec_b32 s4, vcc_lo
	s_cbranch_execz .LBB6_152
; %bb.149:
	v_or3_b32 v17, v46, v39, 2
	v_cmp_gt_i32_e64 s1, s21, v21
	s_delay_alu instid0(VALU_DEP_2) | instskip(NEXT) | instid1(VALU_DEP_1)
	v_cmp_gt_i32_e64 s0, s20, v17
	s_and_b32 s0, s0, s1
	s_delay_alu instid0(SALU_CYCLE_1)
	s_and_b32 exec_lo, exec_lo, s0
	s_cbranch_execz .LBB6_152
; %bb.150:
	v_mul_lo_u32 v17, v17, s21
	s_ashr_i32 s0, s3, 31
	s_waitcnt lgkmcnt(1)
	v_add_co_u32 v19, s1, s3, v45
	s_delay_alu instid0(VALU_DEP_1)
	v_add_co_ci_u32_e64 v20, null, s0, 0, s1
	v_cvt_f16_f32_e32 v10, v10
	s_waitcnt lgkmcnt(0)
	v_cvt_f16_f32_e32 v9, v9
	v_ashrrev_i32_e32 v18, 31, v17
	v_lshlrev_b64 v[19:20], 1, v[19:20]
	s_mov_b32 s1, 0
	s_delay_alu instid0(VALU_DEP_3) | instskip(NEXT) | instid1(VALU_DEP_3)
	v_pack_b32_f16 v9, v10, v9
	v_lshlrev_b64 v[17:18], 1, v[17:18]
	s_delay_alu instid0(VALU_DEP_1) | instskip(NEXT) | instid1(VALU_DEP_1)
	v_add_co_u32 v17, s0, s28, v17
	v_add_co_ci_u32_e64 v18, s0, s29, v18, s0
	s_delay_alu instid0(VALU_DEP_2) | instskip(NEXT) | instid1(VALU_DEP_1)
	v_add_co_u32 v17, s0, v17, v19
	v_add_co_ci_u32_e64 v18, s0, v18, v20, s0
	global_load_b32 v20, v[17:18], off offset:64
.LBB6_151:                              ; =>This Inner Loop Header: Depth=1
	s_waitcnt vmcnt(0)
	v_pk_add_f16 v19, v9, v20
	global_atomic_cmpswap_b32 v10, v[17:18], v[19:20], off offset:64 glc
	s_waitcnt vmcnt(0)
	v_cmp_eq_u32_e64 s0, v10, v20
	v_mov_b32_e32 v20, v10
	s_delay_alu instid0(VALU_DEP_2) | instskip(NEXT) | instid1(SALU_CYCLE_1)
	s_or_b32 s1, s0, s1
	s_and_not1_b32 exec_lo, exec_lo, s1
	s_cbranch_execnz .LBB6_151
.LBB6_152:
	s_or_b32 exec_lo, exec_lo, s4
	ds_bpermute_b32 v17, v22, v11
	s_and_saveexec_b32 s4, vcc_lo
	s_cbranch_execz .LBB6_156
; %bb.153:
	s_waitcnt lgkmcnt(1)
	v_or3_b32 v9, v46, v39, 4
	v_cmp_gt_i32_e64 s1, s21, v21
	s_delay_alu instid0(VALU_DEP_2) | instskip(NEXT) | instid1(VALU_DEP_1)
	v_cmp_gt_i32_e64 s0, s20, v9
	s_and_b32 s0, s0, s1
	s_delay_alu instid0(SALU_CYCLE_1)
	s_and_b32 exec_lo, exec_lo, s0
	s_cbranch_execz .LBB6_156
; %bb.154:
	v_mul_lo_u32 v9, v9, s21
	s_ashr_i32 s0, s3, 31
	v_add_co_u32 v18, s1, s3, v45
	s_delay_alu instid0(VALU_DEP_1)
	v_add_co_ci_u32_e64 v19, null, s0, 0, s1
	v_cvt_f16_f32_e32 v11, v11
	s_waitcnt lgkmcnt(0)
	v_cvt_f16_f32_e32 v17, v17
	v_ashrrev_i32_e32 v10, 31, v9
	v_lshlrev_b64 v[18:19], 1, v[18:19]
	s_mov_b32 s1, 0
	s_delay_alu instid0(VALU_DEP_3) | instskip(NEXT) | instid1(VALU_DEP_3)
	v_pack_b32_f16 v11, v11, v17
	v_lshlrev_b64 v[9:10], 1, v[9:10]
	s_delay_alu instid0(VALU_DEP_1) | instskip(NEXT) | instid1(VALU_DEP_1)
	v_add_co_u32 v9, s0, s28, v9
	v_add_co_ci_u32_e64 v10, s0, s29, v10, s0
	s_delay_alu instid0(VALU_DEP_2) | instskip(NEXT) | instid1(VALU_DEP_1)
	v_add_co_u32 v9, s0, v9, v18
	v_add_co_ci_u32_e64 v10, s0, v10, v19, s0
	global_load_b32 v18, v[9:10], off offset:64
.LBB6_155:                              ; =>This Inner Loop Header: Depth=1
	s_waitcnt vmcnt(0)
	v_pk_add_f16 v17, v11, v18
	global_atomic_cmpswap_b32 v17, v[9:10], v[17:18], off offset:64 glc
	s_waitcnt vmcnt(0)
	v_cmp_eq_u32_e64 s0, v17, v18
	v_mov_b32_e32 v18, v17
	s_delay_alu instid0(VALU_DEP_2) | instskip(NEXT) | instid1(SALU_CYCLE_1)
	s_or_b32 s1, s0, s1
	s_and_not1_b32 exec_lo, exec_lo, s1
	s_cbranch_execnz .LBB6_155
.LBB6_156:
	s_or_b32 exec_lo, exec_lo, s4
	ds_bpermute_b32 v11, v22, v12
	s_and_saveexec_b32 s4, vcc_lo
	s_cbranch_execz .LBB6_160
; %bb.157:
	s_waitcnt lgkmcnt(2)
	v_or3_b32 v9, v46, v39, 6
	v_cmp_gt_i32_e64 s1, s21, v21
	s_delay_alu instid0(VALU_DEP_2) | instskip(NEXT) | instid1(VALU_DEP_1)
	v_cmp_gt_i32_e64 s0, s20, v9
	s_and_b32 s0, s0, s1
	s_delay_alu instid0(SALU_CYCLE_1)
	s_and_b32 exec_lo, exec_lo, s0
	s_cbranch_execz .LBB6_160
; %bb.158:
	v_mul_lo_u32 v9, v9, s21
	s_ashr_i32 s0, s3, 31
	s_waitcnt lgkmcnt(1)
	v_add_co_u32 v17, s1, s3, v45
	s_delay_alu instid0(VALU_DEP_1)
	v_add_co_ci_u32_e64 v18, null, s0, 0, s1
	v_cvt_f16_f32_e32 v12, v12
	s_waitcnt lgkmcnt(0)
	v_cvt_f16_f32_e32 v11, v11
	v_ashrrev_i32_e32 v10, 31, v9
	v_lshlrev_b64 v[17:18], 1, v[17:18]
	s_mov_b32 s1, 0
	s_delay_alu instid0(VALU_DEP_3) | instskip(NEXT) | instid1(VALU_DEP_3)
	v_pack_b32_f16 v11, v12, v11
	v_lshlrev_b64 v[9:10], 1, v[9:10]
	s_delay_alu instid0(VALU_DEP_1) | instskip(NEXT) | instid1(VALU_DEP_1)
	v_add_co_u32 v9, s0, s28, v9
	v_add_co_ci_u32_e64 v10, s0, s29, v10, s0
	s_delay_alu instid0(VALU_DEP_2) | instskip(NEXT) | instid1(VALU_DEP_1)
	v_add_co_u32 v9, s0, v9, v17
	v_add_co_ci_u32_e64 v10, s0, v10, v18, s0
	global_load_b32 v18, v[9:10], off offset:64
.LBB6_159:                              ; =>This Inner Loop Header: Depth=1
	s_waitcnt vmcnt(0)
	v_pk_add_f16 v17, v11, v18
	global_atomic_cmpswap_b32 v12, v[9:10], v[17:18], off offset:64 glc
	s_waitcnt vmcnt(0)
	v_cmp_eq_u32_e64 s0, v12, v18
	v_mov_b32_e32 v18, v12
	s_delay_alu instid0(VALU_DEP_2) | instskip(NEXT) | instid1(SALU_CYCLE_1)
	s_or_b32 s1, s0, s1
	s_and_not1_b32 exec_lo, exec_lo, s1
	s_cbranch_execnz .LBB6_159
.LBB6_160:
	s_or_b32 exec_lo, exec_lo, s4
	s_waitcnt lgkmcnt(0)
	ds_bpermute_b32 v11, v22, v13
	s_and_saveexec_b32 s4, vcc_lo
	s_cbranch_execz .LBB6_164
; %bb.161:
	v_or3_b32 v9, v46, v39, 8
	v_cmp_gt_i32_e64 s1, s21, v21
	s_delay_alu instid0(VALU_DEP_2) | instskip(NEXT) | instid1(VALU_DEP_1)
	v_cmp_gt_i32_e64 s0, s20, v9
	s_and_b32 s0, s0, s1
	s_delay_alu instid0(SALU_CYCLE_1)
	s_and_b32 exec_lo, exec_lo, s0
	s_cbranch_execz .LBB6_164
; %bb.162:
	v_mul_lo_u32 v9, v9, s21
	s_ashr_i32 s0, s3, 31
	v_add_co_u32 v17, s1, s3, v45
	s_delay_alu instid0(VALU_DEP_1)
	v_add_co_ci_u32_e64 v18, null, s0, 0, s1
	v_cvt_f16_f32_e32 v13, v13
	s_waitcnt lgkmcnt(0)
	v_cvt_f16_f32_e32 v11, v11
	v_ashrrev_i32_e32 v10, 31, v9
	v_lshlrev_b64 v[17:18], 1, v[17:18]
	s_mov_b32 s1, 0
	s_delay_alu instid0(VALU_DEP_3) | instskip(NEXT) | instid1(VALU_DEP_3)
	v_pack_b32_f16 v13, v13, v11
	v_lshlrev_b64 v[9:10], 1, v[9:10]
	s_delay_alu instid0(VALU_DEP_1) | instskip(NEXT) | instid1(VALU_DEP_1)
	v_add_co_u32 v9, s0, s28, v9
	v_add_co_ci_u32_e64 v10, s0, s29, v10, s0
	s_delay_alu instid0(VALU_DEP_2) | instskip(NEXT) | instid1(VALU_DEP_1)
	v_add_co_u32 v9, s0, v9, v17
	v_add_co_ci_u32_e64 v10, s0, v10, v18, s0
	global_load_b32 v12, v[9:10], off offset:64
.LBB6_163:                              ; =>This Inner Loop Header: Depth=1
	s_waitcnt vmcnt(0)
	v_pk_add_f16 v11, v13, v12
	global_atomic_cmpswap_b32 v11, v[9:10], v[11:12], off offset:64 glc
	s_waitcnt vmcnt(0)
	v_cmp_eq_u32_e64 s0, v11, v12
	v_mov_b32_e32 v12, v11
	s_delay_alu instid0(VALU_DEP_2) | instskip(NEXT) | instid1(SALU_CYCLE_1)
	s_or_b32 s1, s0, s1
	s_and_not1_b32 exec_lo, exec_lo, s1
	s_cbranch_execnz .LBB6_163
.LBB6_164:
	s_or_b32 exec_lo, exec_lo, s4
	s_waitcnt lgkmcnt(0)
	ds_bpermute_b32 v11, v22, v14
	s_and_saveexec_b32 s4, vcc_lo
	s_cbranch_execz .LBB6_168
; %bb.165:
	v_or3_b32 v9, v46, v39, 10
	v_cmp_gt_i32_e64 s1, s21, v21
	s_delay_alu instid0(VALU_DEP_2) | instskip(NEXT) | instid1(VALU_DEP_1)
	v_cmp_gt_i32_e64 s0, s20, v9
	s_and_b32 s0, s0, s1
	s_delay_alu instid0(SALU_CYCLE_1)
	s_and_b32 exec_lo, exec_lo, s0
	s_cbranch_execz .LBB6_168
; %bb.166:
	v_mul_lo_u32 v9, v9, s21
	s_ashr_i32 s0, s3, 31
	v_add_co_u32 v12, s1, s3, v45
	s_delay_alu instid0(VALU_DEP_1) | instskip(SKIP_3) | instid1(VALU_DEP_4)
	v_add_co_ci_u32_e64 v13, null, s0, 0, s1
	s_waitcnt lgkmcnt(0)
	v_cvt_f16_f32_e32 v11, v11
	s_mov_b32 s1, 0
	v_ashrrev_i32_e32 v10, 31, v9
	v_lshlrev_b64 v[12:13], 1, v[12:13]
	s_delay_alu instid0(VALU_DEP_2) | instskip(NEXT) | instid1(VALU_DEP_1)
	v_lshlrev_b64 v[9:10], 1, v[9:10]
	v_add_co_u32 v9, s0, s28, v9
	s_delay_alu instid0(VALU_DEP_1) | instskip(NEXT) | instid1(VALU_DEP_2)
	v_add_co_ci_u32_e64 v10, s0, s29, v10, s0
	v_add_co_u32 v9, s0, v9, v12
	s_delay_alu instid0(VALU_DEP_1)
	v_add_co_ci_u32_e64 v10, s0, v10, v13, s0
	v_cvt_f16_f32_e32 v13, v14
	global_load_b32 v12, v[9:10], off offset:64
	v_pack_b32_f16 v13, v13, v11
.LBB6_167:                              ; =>This Inner Loop Header: Depth=1
	s_waitcnt vmcnt(0)
	s_delay_alu instid0(VALU_DEP_1) | instskip(SKIP_4) | instid1(VALU_DEP_2)
	v_pk_add_f16 v11, v13, v12
	global_atomic_cmpswap_b32 v11, v[9:10], v[11:12], off offset:64 glc
	s_waitcnt vmcnt(0)
	v_cmp_eq_u32_e64 s0, v11, v12
	v_mov_b32_e32 v12, v11
	s_or_b32 s1, s0, s1
	s_delay_alu instid0(SALU_CYCLE_1)
	s_and_not1_b32 exec_lo, exec_lo, s1
	s_cbranch_execnz .LBB6_167
.LBB6_168:
	s_or_b32 exec_lo, exec_lo, s4
	s_waitcnt lgkmcnt(0)
	ds_bpermute_b32 v11, v22, v15
	s_and_saveexec_b32 s4, vcc_lo
	s_cbranch_execz .LBB6_172
; %bb.169:
	v_or3_b32 v9, v46, v39, 12
	v_cmp_gt_i32_e64 s1, s21, v21
	s_delay_alu instid0(VALU_DEP_2) | instskip(NEXT) | instid1(VALU_DEP_1)
	v_cmp_gt_i32_e64 s0, s20, v9
	s_and_b32 s0, s0, s1
	s_delay_alu instid0(SALU_CYCLE_1)
	s_and_b32 exec_lo, exec_lo, s0
	s_cbranch_execz .LBB6_172
; %bb.170:
	v_mul_lo_u32 v9, v9, s21
	s_ashr_i32 s0, s3, 31
	v_add_co_u32 v12, s1, s3, v45
	s_delay_alu instid0(VALU_DEP_1) | instskip(SKIP_3) | instid1(VALU_DEP_4)
	v_add_co_ci_u32_e64 v13, null, s0, 0, s1
	s_waitcnt lgkmcnt(0)
	v_cvt_f16_f32_e32 v11, v11
	s_mov_b32 s1, 0
	v_ashrrev_i32_e32 v10, 31, v9
	v_lshlrev_b64 v[12:13], 1, v[12:13]
	s_delay_alu instid0(VALU_DEP_2) | instskip(NEXT) | instid1(VALU_DEP_1)
	v_lshlrev_b64 v[9:10], 1, v[9:10]
	v_add_co_u32 v9, s0, s28, v9
	s_delay_alu instid0(VALU_DEP_1) | instskip(NEXT) | instid1(VALU_DEP_2)
	v_add_co_ci_u32_e64 v10, s0, s29, v10, s0
	v_add_co_u32 v9, s0, v9, v12
	s_delay_alu instid0(VALU_DEP_1)
	v_add_co_ci_u32_e64 v10, s0, v10, v13, s0
	v_cvt_f16_f32_e32 v13, v15
	global_load_b32 v12, v[9:10], off offset:64
	v_pack_b32_f16 v13, v13, v11
.LBB6_171:                              ; =>This Inner Loop Header: Depth=1
	s_waitcnt vmcnt(0)
	s_delay_alu instid0(VALU_DEP_1) | instskip(SKIP_4) | instid1(VALU_DEP_2)
	v_pk_add_f16 v11, v13, v12
	global_atomic_cmpswap_b32 v11, v[9:10], v[11:12], off offset:64 glc
	s_waitcnt vmcnt(0)
	v_cmp_eq_u32_e64 s0, v11, v12
	v_mov_b32_e32 v12, v11
	s_or_b32 s1, s0, s1
	s_delay_alu instid0(SALU_CYCLE_1)
	s_and_not1_b32 exec_lo, exec_lo, s1
	s_cbranch_execnz .LBB6_171
.LBB6_172:
	s_or_b32 exec_lo, exec_lo, s4
	s_waitcnt lgkmcnt(0)
	ds_bpermute_b32 v11, v22, v16
	s_and_saveexec_b32 s1, vcc_lo
	s_cbranch_execz .LBB6_176
; %bb.173:
	v_or3_b32 v9, v46, v39, 14
	v_cmp_gt_i32_e64 s0, s21, v21
	s_delay_alu instid0(VALU_DEP_2) | instskip(NEXT) | instid1(VALU_DEP_2)
	v_cmp_gt_i32_e32 vcc_lo, s20, v9
	s_and_b32 s0, vcc_lo, s0
	s_delay_alu instid0(SALU_CYCLE_1)
	s_and_b32 exec_lo, exec_lo, s0
	s_cbranch_execz .LBB6_176
; %bb.174:
	v_mul_lo_u32 v9, v9, s21
	s_ashr_i32 s0, s3, 31
	v_add_co_u32 v12, s4, s3, v45
	s_delay_alu instid0(VALU_DEP_1) | instskip(SKIP_3) | instid1(VALU_DEP_4)
	v_add_co_ci_u32_e64 v13, null, s0, 0, s4
	s_waitcnt lgkmcnt(0)
	v_cvt_f16_f32_e32 v11, v11
	s_mov_b32 s0, 0
	v_ashrrev_i32_e32 v10, 31, v9
	v_lshlrev_b64 v[12:13], 1, v[12:13]
	s_delay_alu instid0(VALU_DEP_2) | instskip(NEXT) | instid1(VALU_DEP_1)
	v_lshlrev_b64 v[9:10], 1, v[9:10]
	v_add_co_u32 v9, vcc_lo, s28, v9
	s_delay_alu instid0(VALU_DEP_2) | instskip(NEXT) | instid1(VALU_DEP_2)
	v_add_co_ci_u32_e32 v10, vcc_lo, s29, v10, vcc_lo
	v_add_co_u32 v9, vcc_lo, v9, v12
	s_delay_alu instid0(VALU_DEP_2)
	v_add_co_ci_u32_e32 v10, vcc_lo, v10, v13, vcc_lo
	v_cvt_f16_f32_e32 v13, v16
	global_load_b32 v12, v[9:10], off offset:64
	v_pack_b32_f16 v13, v13, v11
.LBB6_175:                              ; =>This Inner Loop Header: Depth=1
	s_waitcnt vmcnt(0)
	s_delay_alu instid0(VALU_DEP_1)
	v_pk_add_f16 v11, v13, v12
	global_atomic_cmpswap_b32 v11, v[9:10], v[11:12], off offset:64 glc
	s_waitcnt vmcnt(0)
	v_cmp_eq_u32_e32 vcc_lo, v11, v12
	v_mov_b32_e32 v12, v11
	s_or_b32 s0, vcc_lo, s0
	s_delay_alu instid0(SALU_CYCLE_1)
	s_and_not1_b32 exec_lo, exec_lo, s0
	s_cbranch_execnz .LBB6_175
.LBB6_176:
	s_or_b32 exec_lo, exec_lo, s1
.LBB6_177:
	s_or_b32 s0, s3, 48
	s_and_b32 vcc_lo, exec_lo, s2
	v_or_b32_e32 v13, s0, v45
	s_mov_b32 s1, -1
	s_delay_alu instid0(VALU_DEP_1)
	v_cmp_gt_i32_e64 s0, s21, v13
	s_cbranch_vccz .LBB6_196
; %bb.178:
	s_delay_alu instid0(VALU_DEP_1)
	s_and_saveexec_b32 s1, s0
	s_cbranch_execz .LBB6_195
; %bb.179:
	v_or_b32_e32 v9, v39, v46
	s_mov_b32 s0, exec_lo
	s_delay_alu instid0(VALU_DEP_1)
	v_cmpx_gt_i32_e64 s20, v9
	s_cbranch_execz .LBB6_181
; %bb.180:
	v_mul_lo_u32 v10, v9, s21
	s_ashr_i32 s2, s3, 31
	v_add_co_u32 v14, s4, s3, v45
	s_delay_alu instid0(VALU_DEP_1) | instskip(SKIP_2) | instid1(VALU_DEP_4)
	v_add_co_ci_u32_e64 v15, null, s2, 0, s4
	v_cvt_f16_f32_e32 v12, v1
	s_waitcnt lgkmcnt(0)
	v_ashrrev_i32_e32 v11, 31, v10
	s_delay_alu instid0(VALU_DEP_3) | instskip(NEXT) | instid1(VALU_DEP_2)
	v_lshlrev_b64 v[14:15], 1, v[14:15]
	v_lshlrev_b64 v[10:11], 1, v[10:11]
	s_delay_alu instid0(VALU_DEP_1) | instskip(NEXT) | instid1(VALU_DEP_2)
	v_add_co_u32 v10, vcc_lo, s28, v10
	v_add_co_ci_u32_e32 v11, vcc_lo, s29, v11, vcc_lo
	s_delay_alu instid0(VALU_DEP_2) | instskip(NEXT) | instid1(VALU_DEP_2)
	v_add_co_u32 v10, vcc_lo, v10, v14
	v_add_co_ci_u32_e32 v11, vcc_lo, v11, v15, vcc_lo
	global_store_b16 v[10:11], v12, off offset:96
.LBB6_181:
	s_or_b32 exec_lo, exec_lo, s0
	v_or_b32_e32 v10, 2, v9
	s_mov_b32 s0, exec_lo
	s_delay_alu instid0(VALU_DEP_1)
	v_cmpx_gt_i32_e64 s20, v10
	s_cbranch_execz .LBB6_183
; %bb.182:
	v_mul_lo_u32 v10, v10, s21
	s_ashr_i32 s2, s3, 31
	v_add_co_u32 v14, s4, s3, v45
	s_delay_alu instid0(VALU_DEP_1) | instskip(SKIP_2) | instid1(VALU_DEP_4)
	v_add_co_ci_u32_e64 v15, null, s2, 0, s4
	v_cvt_f16_f32_e32 v12, v2
	s_waitcnt lgkmcnt(0)
	v_ashrrev_i32_e32 v11, 31, v10
	s_delay_alu instid0(VALU_DEP_3) | instskip(NEXT) | instid1(VALU_DEP_2)
	v_lshlrev_b64 v[14:15], 1, v[14:15]
	v_lshlrev_b64 v[10:11], 1, v[10:11]
	s_delay_alu instid0(VALU_DEP_1) | instskip(NEXT) | instid1(VALU_DEP_2)
	v_add_co_u32 v10, vcc_lo, s28, v10
	v_add_co_ci_u32_e32 v11, vcc_lo, s29, v11, vcc_lo
	s_delay_alu instid0(VALU_DEP_2) | instskip(NEXT) | instid1(VALU_DEP_2)
	v_add_co_u32 v10, vcc_lo, v10, v14
	v_add_co_ci_u32_e32 v11, vcc_lo, v11, v15, vcc_lo
	global_store_b16 v[10:11], v12, off offset:96
.LBB6_183:
	s_or_b32 exec_lo, exec_lo, s0
	;; [unrolled: 26-line block ×7, first 2 shown]
	v_or_b32_e32 v9, 14, v9
	s_delay_alu instid0(VALU_DEP_1)
	v_cmp_gt_i32_e32 vcc_lo, s20, v9
	s_and_b32 exec_lo, exec_lo, vcc_lo
	s_cbranch_execz .LBB6_195
; %bb.194:
	v_mul_lo_u32 v9, v9, s21
	s_ashr_i32 s0, s3, 31
	s_waitcnt lgkmcnt(0)
	v_add_co_u32 v11, s2, s3, v45
	s_delay_alu instid0(VALU_DEP_1) | instskip(NEXT) | instid1(VALU_DEP_3)
	v_add_co_ci_u32_e64 v12, null, s0, 0, s2
	v_ashrrev_i32_e32 v10, 31, v9
	s_delay_alu instid0(VALU_DEP_2) | instskip(NEXT) | instid1(VALU_DEP_2)
	v_lshlrev_b64 v[11:12], 1, v[11:12]
	v_lshlrev_b64 v[9:10], 1, v[9:10]
	s_delay_alu instid0(VALU_DEP_1) | instskip(NEXT) | instid1(VALU_DEP_2)
	v_add_co_u32 v9, vcc_lo, s28, v9
	v_add_co_ci_u32_e32 v10, vcc_lo, s29, v10, vcc_lo
	s_delay_alu instid0(VALU_DEP_2) | instskip(NEXT) | instid1(VALU_DEP_2)
	v_add_co_u32 v9, vcc_lo, v9, v11
	v_add_co_ci_u32_e32 v10, vcc_lo, v10, v12, vcc_lo
	v_cvt_f16_f32_e32 v11, v8
	global_store_b16 v[9:10], v11, off offset:96
.LBB6_195:
	s_or_b32 exec_lo, exec_lo, s1
	s_mov_b32 s1, 0
.LBB6_196:
	s_delay_alu instid0(SALU_CYCLE_1)
	s_and_not1_b32 vcc_lo, exec_lo, s1
	s_cbranch_vccnz .LBB6_229
; %bb.197:
	v_xor_b32_e32 v9, 1, v40
	s_delay_alu instid0(VALU_DEP_1) | instskip(SKIP_2) | instid1(VALU_DEP_2)
	v_cmp_gt_i32_e32 vcc_lo, 32, v9
	v_cndmask_b32_e32 v9, v40, v9, vcc_lo
	v_cmp_eq_u32_e32 vcc_lo, 0, v0
	v_lshlrev_b32_e32 v14, 2, v9
	s_waitcnt lgkmcnt(0)
	ds_bpermute_b32 v11, v14, v1
	s_and_saveexec_b32 s2, vcc_lo
	s_cbranch_execz .LBB6_201
; %bb.198:
	v_or_b32_e32 v0, v39, v46
	v_cmp_gt_i32_e64 s1, s21, v13
	s_delay_alu instid0(VALU_DEP_2) | instskip(NEXT) | instid1(VALU_DEP_1)
	v_cmp_gt_i32_e64 s0, s20, v0
	s_and_b32 s0, s0, s1
	s_delay_alu instid0(SALU_CYCLE_1)
	s_and_b32 exec_lo, exec_lo, s0
	s_cbranch_execz .LBB6_201
; %bb.199:
	v_mul_lo_u32 v9, v0, s21
	s_ashr_i32 s0, s3, 31
	v_add_co_u32 v15, s1, s3, v45
	s_delay_alu instid0(VALU_DEP_1) | instskip(SKIP_1) | instid1(VALU_DEP_3)
	v_add_co_ci_u32_e64 v16, null, s0, 0, s1
	s_mov_b32 s1, 0
	v_ashrrev_i32_e32 v10, 31, v9
	s_delay_alu instid0(VALU_DEP_2) | instskip(NEXT) | instid1(VALU_DEP_2)
	v_lshlrev_b64 v[15:16], 1, v[15:16]
	v_lshlrev_b64 v[9:10], 1, v[9:10]
	s_delay_alu instid0(VALU_DEP_1) | instskip(NEXT) | instid1(VALU_DEP_1)
	v_add_co_u32 v0, s0, s28, v9
	v_add_co_ci_u32_e64 v10, s0, s29, v10, s0
	s_delay_alu instid0(VALU_DEP_2) | instskip(NEXT) | instid1(VALU_DEP_1)
	v_add_co_u32 v9, s0, v0, v15
	v_add_co_ci_u32_e64 v10, s0, v10, v16, s0
	v_cvt_f16_f32_e32 v0, v1
	s_waitcnt lgkmcnt(0)
	v_cvt_f16_f32_e32 v1, v11
	global_load_b32 v12, v[9:10], off offset:96
	v_pack_b32_f16 v0, v0, v1
.LBB6_200:                              ; =>This Inner Loop Header: Depth=1
	s_waitcnt vmcnt(0)
	s_delay_alu instid0(VALU_DEP_1) | instskip(SKIP_4) | instid1(VALU_DEP_2)
	v_pk_add_f16 v11, v0, v12
	global_atomic_cmpswap_b32 v1, v[9:10], v[11:12], off offset:96 glc
	s_waitcnt vmcnt(0)
	v_cmp_eq_u32_e64 s0, v1, v12
	v_mov_b32_e32 v12, v1
	s_or_b32 s1, s0, s1
	s_delay_alu instid0(SALU_CYCLE_1)
	s_and_not1_b32 exec_lo, exec_lo, s1
	s_cbranch_execnz .LBB6_200
.LBB6_201:
	s_or_b32 exec_lo, exec_lo, s2
	ds_bpermute_b32 v9, v14, v2
	s_and_saveexec_b32 s2, vcc_lo
	s_cbranch_execz .LBB6_205
; %bb.202:
	v_or3_b32 v0, v46, v39, 2
	v_cmp_gt_i32_e64 s1, s21, v13
	s_delay_alu instid0(VALU_DEP_2) | instskip(NEXT) | instid1(VALU_DEP_1)
	v_cmp_gt_i32_e64 s0, s20, v0
	s_and_b32 s0, s0, s1
	s_delay_alu instid0(SALU_CYCLE_1)
	s_and_b32 exec_lo, exec_lo, s0
	s_cbranch_execz .LBB6_205
; %bb.203:
	v_mul_lo_u32 v0, v0, s21
	s_ashr_i32 s0, s3, 31
	v_add_co_u32 v10, s1, s3, v45
	s_waitcnt lgkmcnt(1)
	v_add_co_ci_u32_e64 v11, null, s0, 0, s1
	v_cvt_f16_f32_e32 v2, v2
	s_waitcnt lgkmcnt(0)
	v_cvt_f16_f32_e32 v9, v9
	v_ashrrev_i32_e32 v1, 31, v0
	v_lshlrev_b64 v[10:11], 1, v[10:11]
	s_mov_b32 s1, 0
	s_delay_alu instid0(VALU_DEP_3) | instskip(NEXT) | instid1(VALU_DEP_3)
	v_pack_b32_f16 v2, v2, v9
	v_lshlrev_b64 v[0:1], 1, v[0:1]
	s_delay_alu instid0(VALU_DEP_1) | instskip(NEXT) | instid1(VALU_DEP_1)
	v_add_co_u32 v0, s0, s28, v0
	v_add_co_ci_u32_e64 v1, s0, s29, v1, s0
	s_delay_alu instid0(VALU_DEP_2) | instskip(NEXT) | instid1(VALU_DEP_1)
	v_add_co_u32 v0, s0, v0, v10
	v_add_co_ci_u32_e64 v1, s0, v1, v11, s0
	global_load_b32 v10, v[0:1], off offset:96
.LBB6_204:                              ; =>This Inner Loop Header: Depth=1
	s_waitcnt vmcnt(0)
	v_pk_add_f16 v9, v2, v10
	global_atomic_cmpswap_b32 v9, v[0:1], v[9:10], off offset:96 glc
	s_waitcnt vmcnt(0)
	v_cmp_eq_u32_e64 s0, v9, v10
	v_mov_b32_e32 v10, v9
	s_delay_alu instid0(VALU_DEP_2) | instskip(NEXT) | instid1(SALU_CYCLE_1)
	s_or_b32 s1, s0, s1
	s_and_not1_b32 exec_lo, exec_lo, s1
	s_cbranch_execnz .LBB6_204
.LBB6_205:
	s_or_b32 exec_lo, exec_lo, s2
	ds_bpermute_b32 v2, v14, v3
	s_and_saveexec_b32 s2, vcc_lo
	s_cbranch_execz .LBB6_209
; %bb.206:
	v_or3_b32 v0, v46, v39, 4
	v_cmp_gt_i32_e64 s1, s21, v13
	s_delay_alu instid0(VALU_DEP_2) | instskip(NEXT) | instid1(VALU_DEP_1)
	v_cmp_gt_i32_e64 s0, s20, v0
	s_and_b32 s0, s0, s1
	s_delay_alu instid0(SALU_CYCLE_1)
	s_and_b32 exec_lo, exec_lo, s0
	s_cbranch_execz .LBB6_209
; %bb.207:
	v_mul_lo_u32 v0, v0, s21
	s_ashr_i32 s0, s3, 31
	s_waitcnt lgkmcnt(1)
	v_add_co_u32 v9, s1, s3, v45
	s_delay_alu instid0(VALU_DEP_1)
	v_add_co_ci_u32_e64 v10, null, s0, 0, s1
	v_cvt_f16_f32_e32 v3, v3
	s_waitcnt lgkmcnt(0)
	v_cvt_f16_f32_e32 v2, v2
	v_ashrrev_i32_e32 v1, 31, v0
	v_lshlrev_b64 v[9:10], 1, v[9:10]
	s_mov_b32 s1, 0
	s_delay_alu instid0(VALU_DEP_3) | instskip(NEXT) | instid1(VALU_DEP_3)
	v_pack_b32_f16 v2, v3, v2
	v_lshlrev_b64 v[0:1], 1, v[0:1]
	s_delay_alu instid0(VALU_DEP_1) | instskip(NEXT) | instid1(VALU_DEP_1)
	v_add_co_u32 v0, s0, s28, v0
	v_add_co_ci_u32_e64 v1, s0, s29, v1, s0
	s_delay_alu instid0(VALU_DEP_2) | instskip(NEXT) | instid1(VALU_DEP_1)
	v_add_co_u32 v0, s0, v0, v9
	v_add_co_ci_u32_e64 v1, s0, v1, v10, s0
	global_load_b32 v10, v[0:1], off offset:96
.LBB6_208:                              ; =>This Inner Loop Header: Depth=1
	s_waitcnt vmcnt(0)
	v_pk_add_f16 v9, v2, v10
	global_atomic_cmpswap_b32 v3, v[0:1], v[9:10], off offset:96 glc
	s_waitcnt vmcnt(0)
	v_cmp_eq_u32_e64 s0, v3, v10
	v_mov_b32_e32 v10, v3
	s_delay_alu instid0(VALU_DEP_2) | instskip(NEXT) | instid1(SALU_CYCLE_1)
	s_or_b32 s1, s0, s1
	s_and_not1_b32 exec_lo, exec_lo, s1
	s_cbranch_execnz .LBB6_208
.LBB6_209:
	s_or_b32 exec_lo, exec_lo, s2
	s_waitcnt lgkmcnt(0)
	ds_bpermute_b32 v2, v14, v4
	s_and_saveexec_b32 s2, vcc_lo
	s_cbranch_execz .LBB6_213
; %bb.210:
	v_or3_b32 v0, v46, v39, 6
	v_cmp_gt_i32_e64 s1, s21, v13
	s_delay_alu instid0(VALU_DEP_2) | instskip(NEXT) | instid1(VALU_DEP_1)
	v_cmp_gt_i32_e64 s0, s20, v0
	s_and_b32 s0, s0, s1
	s_delay_alu instid0(SALU_CYCLE_1)
	s_and_b32 exec_lo, exec_lo, s0
	s_cbranch_execz .LBB6_213
; %bb.211:
	v_mul_lo_u32 v0, v0, s21
	s_ashr_i32 s0, s3, 31
	v_add_co_u32 v9, s1, s3, v45
	s_delay_alu instid0(VALU_DEP_1)
	v_add_co_ci_u32_e64 v10, null, s0, 0, s1
	v_cvt_f16_f32_e32 v4, v4
	s_waitcnt lgkmcnt(0)
	v_cvt_f16_f32_e32 v2, v2
	v_ashrrev_i32_e32 v1, 31, v0
	v_lshlrev_b64 v[9:10], 1, v[9:10]
	s_mov_b32 s1, 0
	s_delay_alu instid0(VALU_DEP_3) | instskip(NEXT) | instid1(VALU_DEP_3)
	v_pack_b32_f16 v4, v4, v2
	v_lshlrev_b64 v[0:1], 1, v[0:1]
	s_delay_alu instid0(VALU_DEP_1) | instskip(NEXT) | instid1(VALU_DEP_1)
	v_add_co_u32 v0, s0, s28, v0
	v_add_co_ci_u32_e64 v1, s0, s29, v1, s0
	s_delay_alu instid0(VALU_DEP_2) | instskip(NEXT) | instid1(VALU_DEP_1)
	v_add_co_u32 v0, s0, v0, v9
	v_add_co_ci_u32_e64 v1, s0, v1, v10, s0
	global_load_b32 v3, v[0:1], off offset:96
.LBB6_212:                              ; =>This Inner Loop Header: Depth=1
	s_waitcnt vmcnt(0)
	v_pk_add_f16 v2, v4, v3
	global_atomic_cmpswap_b32 v2, v[0:1], v[2:3], off offset:96 glc
	s_waitcnt vmcnt(0)
	v_cmp_eq_u32_e64 s0, v2, v3
	v_mov_b32_e32 v3, v2
	s_delay_alu instid0(VALU_DEP_2) | instskip(NEXT) | instid1(SALU_CYCLE_1)
	s_or_b32 s1, s0, s1
	s_and_not1_b32 exec_lo, exec_lo, s1
	s_cbranch_execnz .LBB6_212
.LBB6_213:
	s_or_b32 exec_lo, exec_lo, s2
	s_waitcnt lgkmcnt(0)
	ds_bpermute_b32 v2, v14, v5
	s_and_saveexec_b32 s2, vcc_lo
	s_cbranch_execz .LBB6_217
; %bb.214:
	v_or3_b32 v0, v46, v39, 8
	v_cmp_gt_i32_e64 s1, s21, v13
	s_delay_alu instid0(VALU_DEP_2) | instskip(NEXT) | instid1(VALU_DEP_1)
	v_cmp_gt_i32_e64 s0, s20, v0
	s_and_b32 s0, s0, s1
	s_delay_alu instid0(SALU_CYCLE_1)
	s_and_b32 exec_lo, exec_lo, s0
	s_cbranch_execz .LBB6_217
; %bb.215:
	v_mul_lo_u32 v0, v0, s21
	s_ashr_i32 s0, s3, 31
	v_add_co_u32 v3, s1, s3, v45
	s_delay_alu instid0(VALU_DEP_1) | instskip(SKIP_3) | instid1(VALU_DEP_4)
	v_add_co_ci_u32_e64 v4, null, s0, 0, s1
	s_waitcnt lgkmcnt(0)
	v_cvt_f16_f32_e32 v2, v2
	s_mov_b32 s1, 0
	v_ashrrev_i32_e32 v1, 31, v0
	v_lshlrev_b64 v[3:4], 1, v[3:4]
	s_delay_alu instid0(VALU_DEP_2) | instskip(NEXT) | instid1(VALU_DEP_1)
	v_lshlrev_b64 v[0:1], 1, v[0:1]
	v_add_co_u32 v0, s0, s28, v0
	s_delay_alu instid0(VALU_DEP_1) | instskip(NEXT) | instid1(VALU_DEP_2)
	v_add_co_ci_u32_e64 v1, s0, s29, v1, s0
	v_add_co_u32 v0, s0, v0, v3
	s_delay_alu instid0(VALU_DEP_1)
	v_add_co_ci_u32_e64 v1, s0, v1, v4, s0
	v_cvt_f16_f32_e32 v4, v5
	global_load_b32 v3, v[0:1], off offset:96
	v_pack_b32_f16 v4, v4, v2
.LBB6_216:                              ; =>This Inner Loop Header: Depth=1
	s_waitcnt vmcnt(0)
	s_delay_alu instid0(VALU_DEP_1) | instskip(SKIP_4) | instid1(VALU_DEP_2)
	v_pk_add_f16 v2, v4, v3
	global_atomic_cmpswap_b32 v2, v[0:1], v[2:3], off offset:96 glc
	s_waitcnt vmcnt(0)
	v_cmp_eq_u32_e64 s0, v2, v3
	v_mov_b32_e32 v3, v2
	s_or_b32 s1, s0, s1
	s_delay_alu instid0(SALU_CYCLE_1)
	s_and_not1_b32 exec_lo, exec_lo, s1
	s_cbranch_execnz .LBB6_216
.LBB6_217:
	s_or_b32 exec_lo, exec_lo, s2
	s_waitcnt lgkmcnt(0)
	ds_bpermute_b32 v2, v14, v6
	s_and_saveexec_b32 s2, vcc_lo
	s_cbranch_execz .LBB6_221
; %bb.218:
	v_or3_b32 v0, v46, v39, 10
	v_cmp_gt_i32_e64 s1, s21, v13
	s_delay_alu instid0(VALU_DEP_2) | instskip(NEXT) | instid1(VALU_DEP_1)
	v_cmp_gt_i32_e64 s0, s20, v0
	s_and_b32 s0, s0, s1
	s_delay_alu instid0(SALU_CYCLE_1)
	s_and_b32 exec_lo, exec_lo, s0
	s_cbranch_execz .LBB6_221
; %bb.219:
	v_mul_lo_u32 v0, v0, s21
	s_ashr_i32 s0, s3, 31
	v_add_co_u32 v3, s1, s3, v45
	s_delay_alu instid0(VALU_DEP_1) | instskip(SKIP_3) | instid1(VALU_DEP_4)
	v_add_co_ci_u32_e64 v4, null, s0, 0, s1
	s_waitcnt lgkmcnt(0)
	v_cvt_f16_f32_e32 v2, v2
	s_mov_b32 s1, 0
	v_ashrrev_i32_e32 v1, 31, v0
	v_lshlrev_b64 v[3:4], 1, v[3:4]
	s_delay_alu instid0(VALU_DEP_2) | instskip(NEXT) | instid1(VALU_DEP_1)
	v_lshlrev_b64 v[0:1], 1, v[0:1]
	v_add_co_u32 v0, s0, s28, v0
	s_delay_alu instid0(VALU_DEP_1) | instskip(NEXT) | instid1(VALU_DEP_2)
	v_add_co_ci_u32_e64 v1, s0, s29, v1, s0
	v_add_co_u32 v0, s0, v0, v3
	s_delay_alu instid0(VALU_DEP_1)
	v_add_co_ci_u32_e64 v1, s0, v1, v4, s0
	v_cvt_f16_f32_e32 v4, v6
	global_load_b32 v3, v[0:1], off offset:96
	v_pack_b32_f16 v4, v4, v2
.LBB6_220:                              ; =>This Inner Loop Header: Depth=1
	s_waitcnt vmcnt(0)
	s_delay_alu instid0(VALU_DEP_1) | instskip(SKIP_4) | instid1(VALU_DEP_2)
	v_pk_add_f16 v2, v4, v3
	global_atomic_cmpswap_b32 v2, v[0:1], v[2:3], off offset:96 glc
	s_waitcnt vmcnt(0)
	v_cmp_eq_u32_e64 s0, v2, v3
	v_mov_b32_e32 v3, v2
	s_or_b32 s1, s0, s1
	s_delay_alu instid0(SALU_CYCLE_1)
	s_and_not1_b32 exec_lo, exec_lo, s1
	s_cbranch_execnz .LBB6_220
.LBB6_221:
	;; [unrolled: 49-line block ×3, first 2 shown]
	s_or_b32 exec_lo, exec_lo, s2
	s_waitcnt lgkmcnt(0)
	ds_bpermute_b32 v2, v14, v8
	s_and_saveexec_b32 s0, vcc_lo
	s_cbranch_execz .LBB6_229
; %bb.226:
	v_or3_b32 v0, v46, v39, 14
	v_cmp_gt_i32_e64 s0, s21, v13
	s_delay_alu instid0(VALU_DEP_2) | instskip(NEXT) | instid1(VALU_DEP_2)
	v_cmp_gt_i32_e32 vcc_lo, s20, v0
	s_and_b32 s0, vcc_lo, s0
	s_delay_alu instid0(SALU_CYCLE_1)
	s_and_b32 exec_lo, exec_lo, s0
	s_cbranch_execz .LBB6_229
; %bb.227:
	v_mul_lo_u32 v0, v0, s21
	s_ashr_i32 s0, s3, 31
	v_add_co_u32 v3, s1, s3, v45
	s_delay_alu instid0(VALU_DEP_1) | instskip(SKIP_3) | instid1(VALU_DEP_4)
	v_add_co_ci_u32_e64 v4, null, s0, 0, s1
	s_waitcnt lgkmcnt(0)
	v_cvt_f16_f32_e32 v2, v2
	s_mov_b32 s0, 0
	v_ashrrev_i32_e32 v1, 31, v0
	v_lshlrev_b64 v[3:4], 1, v[3:4]
	s_delay_alu instid0(VALU_DEP_2) | instskip(NEXT) | instid1(VALU_DEP_1)
	v_lshlrev_b64 v[0:1], 1, v[0:1]
	v_add_co_u32 v0, vcc_lo, s28, v0
	s_delay_alu instid0(VALU_DEP_2) | instskip(NEXT) | instid1(VALU_DEP_2)
	v_add_co_ci_u32_e32 v1, vcc_lo, s29, v1, vcc_lo
	v_add_co_u32 v0, vcc_lo, v0, v3
	s_delay_alu instid0(VALU_DEP_2)
	v_add_co_ci_u32_e32 v1, vcc_lo, v1, v4, vcc_lo
	v_cvt_f16_f32_e32 v4, v8
	global_load_b32 v3, v[0:1], off offset:96
	v_pack_b32_f16 v4, v4, v2
.LBB6_228:                              ; =>This Inner Loop Header: Depth=1
	s_waitcnt vmcnt(0)
	s_delay_alu instid0(VALU_DEP_1)
	v_pk_add_f16 v2, v4, v3
	global_atomic_cmpswap_b32 v2, v[0:1], v[2:3], off offset:96 glc
	s_waitcnt vmcnt(0)
	v_cmp_eq_u32_e32 vcc_lo, v2, v3
	v_mov_b32_e32 v3, v2
	s_or_b32 s0, vcc_lo, s0
	s_delay_alu instid0(SALU_CYCLE_1)
	s_and_not1_b32 exec_lo, exec_lo, s0
	s_cbranch_execnz .LBB6_228
.LBB6_229:
	s_nop 0
	s_sendmsg sendmsg(MSG_DEALLOC_VGPRS)
	s_endpgm
	.section	.rodata,"a",@progbits
	.p2align	6, 0x0
	.amdhsa_kernel _ZN4vllm15gptq_rdna3_wmma28gemm_q4_wmma_kernel_64x64_4wI6__halfEEvPKT_PKjS7_S5_PS3_iiiiiPKi
		.amdhsa_group_segment_fixed_size 4096
		.amdhsa_private_segment_fixed_size 0
		.amdhsa_kernarg_size 328
		.amdhsa_user_sgpr_count 13
		.amdhsa_user_sgpr_dispatch_ptr 0
		.amdhsa_user_sgpr_queue_ptr 0
		.amdhsa_user_sgpr_kernarg_segment_ptr 1
		.amdhsa_user_sgpr_dispatch_id 0
		.amdhsa_user_sgpr_private_segment_size 0
		.amdhsa_wavefront_size32 1
		.amdhsa_uses_dynamic_stack 0
		.amdhsa_enable_private_segment 0
		.amdhsa_system_sgpr_workgroup_id_x 1
		.amdhsa_system_sgpr_workgroup_id_y 1
		.amdhsa_system_sgpr_workgroup_id_z 1
		.amdhsa_system_sgpr_workgroup_info 0
		.amdhsa_system_vgpr_workitem_id 0
		.amdhsa_next_free_vgpr 86
		.amdhsa_next_free_sgpr 54
		.amdhsa_reserve_vcc 1
		.amdhsa_float_round_mode_32 0
		.amdhsa_float_round_mode_16_64 0
		.amdhsa_float_denorm_mode_32 3
		.amdhsa_float_denorm_mode_16_64 3
		.amdhsa_dx10_clamp 1
		.amdhsa_ieee_mode 1
		.amdhsa_fp16_overflow 0
		.amdhsa_workgroup_processor_mode 1
		.amdhsa_memory_ordered 1
		.amdhsa_forward_progress 0
		.amdhsa_shared_vgpr_count 0
		.amdhsa_exception_fp_ieee_invalid_op 0
		.amdhsa_exception_fp_denorm_src 0
		.amdhsa_exception_fp_ieee_div_zero 0
		.amdhsa_exception_fp_ieee_overflow 0
		.amdhsa_exception_fp_ieee_underflow 0
		.amdhsa_exception_fp_ieee_inexact 0
		.amdhsa_exception_int_div_zero 0
	.end_amdhsa_kernel
	.section	.text._ZN4vllm15gptq_rdna3_wmma28gemm_q4_wmma_kernel_64x64_4wI6__halfEEvPKT_PKjS7_S5_PS3_iiiiiPKi,"axG",@progbits,_ZN4vllm15gptq_rdna3_wmma28gemm_q4_wmma_kernel_64x64_4wI6__halfEEvPKT_PKjS7_S5_PS3_iiiiiPKi,comdat
.Lfunc_end6:
	.size	_ZN4vllm15gptq_rdna3_wmma28gemm_q4_wmma_kernel_64x64_4wI6__halfEEvPKT_PKjS7_S5_PS3_iiiiiPKi, .Lfunc_end6-_ZN4vllm15gptq_rdna3_wmma28gemm_q4_wmma_kernel_64x64_4wI6__halfEEvPKT_PKjS7_S5_PS3_iiiiiPKi
                                        ; -- End function
	.section	.AMDGPU.csdata,"",@progbits
; Kernel info:
; codeLenInByte = 15472
; NumSgprs: 56
; NumVgprs: 86
; ScratchSize: 0
; MemoryBound: 1
; FloatMode: 240
; IeeeMode: 1
; LDSByteSize: 4096 bytes/workgroup (compile time only)
; SGPRBlocks: 6
; VGPRBlocks: 10
; NumSGPRsForWavesPerEU: 56
; NumVGPRsForWavesPerEU: 86
; Occupancy: 16
; WaveLimiterHint : 1
; COMPUTE_PGM_RSRC2:SCRATCH_EN: 0
; COMPUTE_PGM_RSRC2:USER_SGPR: 13
; COMPUTE_PGM_RSRC2:TRAP_HANDLER: 0
; COMPUTE_PGM_RSRC2:TGID_X_EN: 1
; COMPUTE_PGM_RSRC2:TGID_Y_EN: 1
; COMPUTE_PGM_RSRC2:TGID_Z_EN: 1
; COMPUTE_PGM_RSRC2:TIDIG_COMP_CNT: 0
	.section	.text._ZN4vllm15gptq_rdna3_wmma28gemm_q4_wmma_kernel_16x16_1wI14__hip_bfloat16EEvPKT_PKjS7_S5_PS3_iiiiiPKi,"axG",@progbits,_ZN4vllm15gptq_rdna3_wmma28gemm_q4_wmma_kernel_16x16_1wI14__hip_bfloat16EEvPKT_PKjS7_S5_PS3_iiiiiPKi,comdat
	.protected	_ZN4vllm15gptq_rdna3_wmma28gemm_q4_wmma_kernel_16x16_1wI14__hip_bfloat16EEvPKT_PKjS7_S5_PS3_iiiiiPKi ; -- Begin function _ZN4vllm15gptq_rdna3_wmma28gemm_q4_wmma_kernel_16x16_1wI14__hip_bfloat16EEvPKT_PKjS7_S5_PS3_iiiiiPKi
	.globl	_ZN4vllm15gptq_rdna3_wmma28gemm_q4_wmma_kernel_16x16_1wI14__hip_bfloat16EEvPKT_PKjS7_S5_PS3_iiiiiPKi
	.p2align	8
	.type	_ZN4vllm15gptq_rdna3_wmma28gemm_q4_wmma_kernel_16x16_1wI14__hip_bfloat16EEvPKT_PKjS7_S5_PS3_iiiiiPKi,@function
_ZN4vllm15gptq_rdna3_wmma28gemm_q4_wmma_kernel_16x16_1wI14__hip_bfloat16EEvPKT_PKjS7_S5_PS3_iiiiiPKi: ; @_ZN4vllm15gptq_rdna3_wmma28gemm_q4_wmma_kernel_16x16_1wI14__hip_bfloat16EEvPKT_PKjS7_S5_PS3_iiiiiPKi
; %bb.0:
	s_load_b128 s[28:31], s[0:1], 0x28
	s_lshl_b32 s3, s14, 4
	s_lshl_b32 s6, s13, 4
	s_waitcnt lgkmcnt(0)
	s_cmp_ge_i32 s3, s28
	s_cselect_b32 s2, -1, 0
	s_cmp_ge_i32 s6, s29
	s_cselect_b32 s4, -1, 0
	s_delay_alu instid0(SALU_CYCLE_1) | instskip(NEXT) | instid1(SALU_CYCLE_1)
	s_or_b32 s2, s2, s4
	s_and_b32 vcc_lo, exec_lo, s2
	s_cbranch_vccnz .LBB7_222
; %bb.1:
	s_load_b32 s33, s[0:1], 0x50
	s_abs_i32 s7, s31
	s_clause 0x1
	s_load_b64 s[34:35], s[0:1], 0x20
	s_load_b32 s38, s[0:1], 0x38
	v_cvt_f32_u32_e32 v2, s7
	v_lshrrev_b32_e32 v21, 4, v0
	v_dual_mov_b32 v8, 0 :: v_dual_and_b32 v9, 15, v0
	s_delay_alu instid0(VALU_DEP_1) | instskip(NEXT) | instid1(VALU_DEP_2)
	v_mov_b32_e32 v6, v8
	v_or_b32_e32 v17, s6, v9
	v_mov_b32_e32 v7, v8
	v_mov_b32_e32 v5, v8
	;; [unrolled: 1-line block ×3, first 2 shown]
	s_waitcnt lgkmcnt(0)
	v_cvt_f32_u32_e32 v1, s33
	s_sub_i32 s4, 0, s33
	s_delay_alu instid0(VALU_DEP_1) | instskip(SKIP_2) | instid1(VALU_DEP_1)
	v_rcp_iflag_f32_e32 v1, v1
	s_waitcnt_depctr 0xfff
	v_mul_f32_e32 v1, 0x4f7ffffe, v1
	v_cvt_u32_f32_e32 v1, v1
	s_delay_alu instid0(VALU_DEP_1) | instskip(SKIP_3) | instid1(VALU_DEP_3)
	v_readfirstlane_b32 s2, v1
	v_rcp_iflag_f32_e32 v1, v2
	v_mov_b32_e32 v4, v8
	v_mov_b32_e32 v2, v8
	s_mul_i32 s4, s4, s2
	s_delay_alu instid0(SALU_CYCLE_1) | instskip(NEXT) | instid1(SALU_CYCLE_1)
	s_mul_hi_u32 s4, s2, s4
	s_add_i32 s2, s2, s4
	s_waitcnt_depctr 0xfff
	v_mul_f32_e32 v1, 0x4f7ffffe, v1
	s_mul_hi_u32 s4, s30, s2
	v_cmp_gt_i32_e64 s2, s29, v17
	s_mul_i32 s5, s4, s33
	s_add_i32 s8, s4, 1
	s_sub_i32 s5, s30, s5
	v_cvt_u32_f32_e32 v1, v1
	s_sub_i32 s9, s5, s33
	s_cmp_ge_u32 s5, s33
	s_cselect_b32 s4, s8, s4
	s_cselect_b32 s5, s9, s5
	s_add_i32 s8, s4, 1
	s_cmp_ge_u32 s5, s33
	v_readfirstlane_b32 s9, v1
	v_mov_b32_e32 v1, v8
	s_cselect_b32 s8, s8, s4
	s_delay_alu instid0(SALU_CYCLE_1)
	s_cmp_lt_i32 s8, 1
	s_cbranch_scc1 .LBB7_11
; %bb.2:
	s_sub_i32 s4, 0, s7
	s_abs_i32 s11, s30
	s_mul_i32 s10, s4, s9
	s_load_b64 s[4:5], s[0:1], 0x40
	s_mul_hi_u32 s10, s9, s10
	s_ashr_i32 s12, s31, 31
	s_add_i32 s9, s9, s10
	s_ashr_i32 s10, s30, 31
	s_mul_hi_u32 s9, s11, s9
	s_xor_b32 s10, s10, s12
	s_mul_i32 s13, s9, s7
	s_add_i32 s12, s9, 1
	s_sub_i32 s11, s11, s13
	s_mul_i32 s36, s8, s15
	s_sub_i32 s13, s11, s7
	s_cmp_ge_u32 s11, s7
	v_or_b32_e32 v6, s3, v9
	s_cselect_b32 s9, s12, s9
	s_cselect_b32 s11, s13, s11
	s_add_i32 s12, s9, 1
	s_cmp_ge_u32 s11, s7
	s_load_b256 s[20:27], s[0:1], 0x0
	s_cselect_b32 s7, s12, s9
	s_add_i32 s31, s36, s8
	s_ashr_i32 s8, s29, 31
	s_ashr_i32 s6, s6, 31
	s_lshr_b32 s8, s8, 29
	s_xor_b32 s7, s7, s10
	s_add_i32 s8, s29, s8
	s_sub_i32 s7, s7, s10
	s_ashr_i32 s39, s8, 3
	s_lshr_b32 s6, s6, 29
	s_waitcnt lgkmcnt(0)
	s_cmp_lg_u64 s[4:5], 0
	v_mul_lo_u32 v2, v6, s30
	s_cselect_b32 s40, -1, 0
	s_abs_i32 s41, s7
	v_lshlrev_b32_e32 v22, 1, v9
	v_cvt_f32_u32_e32 v1, s41
	v_cmp_gt_i32_e64 s0, s28, v6
	s_ashr_i32 s37, s36, 31
	s_ashr_i32 s1, s7, 31
	s_delay_alu instid0(VALU_DEP_2)
	v_rcp_iflag_f32_e32 v1, v1
	s_waitcnt_depctr 0xfff
	v_mul_f32_e32 v7, 0x4f7ffffe, v1
	v_mov_b32_e32 v1, 0
	v_add_nc_u32_e32 v3, s3, v9
	v_lshlrev_b32_e32 v5, 2, v0
	v_lshl_or_b32 v24, v21, 8, v22
	s_delay_alu instid0(VALU_DEP_4) | instskip(NEXT) | instid1(VALU_DEP_4)
	v_mov_b32_e32 v6, v1
	v_mul_lo_u32 v4, s30, v3
	v_ashrrev_i32_e32 v3, 31, v2
	v_cvt_u32_f32_e32 v7, v7
	v_dual_mov_b32 v8, v1 :: v_dual_and_b32 v23, 28, v5
	s_delay_alu instid0(VALU_DEP_3) | instskip(NEXT) | instid1(VALU_DEP_3)
	v_lshlrev_b64 v[2:3], 1, v[2:3]
	v_readfirstlane_b32 s8, v7
	v_ashrrev_i32_e32 v5, 31, v4
	v_mov_b32_e32 v7, v1
	s_delay_alu instid0(VALU_DEP_4)
	v_add_co_u32 v25, vcc_lo, s20, v2
	v_add_nc_u32_e32 v2, s6, v17
	s_sub_i32 s6, 0, s41
	v_lshlrev_b64 v[4:5], 1, v[4:5]
	s_mul_i32 s6, s6, s8
	v_add_co_ci_u32_e32 v26, vcc_lo, s21, v3, vcc_lo
	v_mov_b32_e32 v3, v1
	s_mul_hi_u32 s9, s8, s6
	s_lshl_b64 s[6:7], s[36:37], 2
	s_add_i32 s30, s8, s9
	s_add_u32 s4, s6, s4
	s_addc_u32 s5, s7, s5
	s_add_u32 s42, s4, 60
	s_addc_u32 s43, s5, 0
	s_lshl_b64 s[4:5], s[36:37], 1
	v_ashrrev_i32_e32 v18, 3, v2
	s_add_u32 s4, s20, s4
	s_addc_u32 s5, s21, s5
	v_add_co_u32 v19, vcc_lo, s4, v4
	v_add_co_ci_u32_e32 v20, vcc_lo, s5, v5, vcc_lo
	v_mov_b32_e32 v2, v1
	v_mov_b32_e32 v4, v1
	;; [unrolled: 1-line block ×3, first 2 shown]
	s_mov_b32 s20, 0xf000f
	s_branch .LBB7_4
.LBB7_3:                                ;   in Loop: Header=BB7_4 Depth=1
	s_or_b32 exec_lo, exec_lo, s21
	ds_load_u16 v27, v22 offset:256
	ds_load_u16 v28, v22 offset:288
	;; [unrolled: 1-line block ×14, first 2 shown]
	ds_load_u16 v41, v22
	ds_load_u16 v42, v22 offset:32
	v_add_co_u32 v19, vcc_lo, v19, 32
	s_add_i32 s36, s36, 16
	v_add_co_ci_u32_e32 v20, vcc_lo, 0, v20, vcc_lo
	s_add_u32 s42, s42, 64
	s_addc_u32 s43, s43, 0
	s_cmp_ge_i32 s36, s31
	s_waitcnt lgkmcnt(8)
	v_perm_b32 v34, v34, v33, 0x5040100
	v_perm_b32 v33, v32, v31, 0x5040100
	;; [unrolled: 1-line block ×4, first 2 shown]
	s_waitcnt lgkmcnt(6)
	v_perm_b32 v30, v36, v35, 0x5040100
	s_waitcnt lgkmcnt(4)
	v_perm_b32 v28, v38, v37, 0x5040100
	;; [unrolled: 2-line block ×4, first 2 shown]
	s_waitcnt vmcnt(0)
	s_delay_alu instid0(VALU_DEP_1)
	v_wmma_f32_16x16x16_bf16 v[1:8], v[9:16], v[27:34], v[1:8]
	s_cbranch_scc1 .LBB7_11
.LBB7_4:                                ; =>This Inner Loop Header: Depth=1
	s_and_saveexec_b32 s4, s2
	s_cbranch_execz .LBB7_6
; %bb.5:                                ;   in Loop: Header=BB7_4 Depth=1
	s_abs_i32 s6, s36
	s_ashr_i32 s5, s36, 31
	s_mul_hi_u32 s8, s6, s30
	s_lshr_b32 s7, s5, 29
	s_mul_i32 s9, s8, s41
	s_add_i32 s7, s36, s7
	s_sub_i32 s6, s6, s9
	s_ashr_i32 s7, s7, 3
	s_xor_b32 s5, s5, s1
	s_add_i32 s9, s8, 1
	s_sub_i32 s10, s6, s41
	s_cmp_ge_u32 s6, s41
	v_add_nc_u32_e32 v13, s7, v21
	s_cselect_b32 s8, s9, s8
	s_cselect_b32 s6, s10, s6
	s_add_i32 s9, s8, 1
	s_cmp_ge_u32 s6, s41
	v_mad_u64_u32 v[11:12], null, v13, s29, v[17:18]
	s_cselect_b32 s6, s9, s8
	s_delay_alu instid0(SALU_CYCLE_1) | instskip(NEXT) | instid1(SALU_CYCLE_1)
	s_xor_b32 s6, s6, s5
	s_sub_i32 s5, s6, s5
	s_delay_alu instid0(SALU_CYCLE_1) | instskip(SKIP_1) | instid1(VALU_DEP_3)
	v_mad_u64_u32 v[9:10], null, s5, s39, v[18:19]
	v_mad_u64_u32 v[13:14], null, s5, s29, v[17:18]
	v_ashrrev_i32_e32 v12, 31, v11
	s_delay_alu instid0(VALU_DEP_3) | instskip(NEXT) | instid1(VALU_DEP_2)
	v_ashrrev_i32_e32 v10, 31, v9
	v_lshlrev_b64 v[11:12], 2, v[11:12]
	s_delay_alu instid0(VALU_DEP_4) | instskip(NEXT) | instid1(VALU_DEP_3)
	v_ashrrev_i32_e32 v14, 31, v13
	v_lshlrev_b64 v[9:10], 2, v[9:10]
	s_delay_alu instid0(VALU_DEP_1) | instskip(NEXT) | instid1(VALU_DEP_2)
	v_add_co_u32 v9, vcc_lo, s24, v9
	v_add_co_ci_u32_e32 v10, vcc_lo, s25, v10, vcc_lo
	v_add_co_u32 v11, vcc_lo, s22, v11
	v_add_co_ci_u32_e32 v12, vcc_lo, s23, v12, vcc_lo
	global_load_b32 v15, v[9:10], off
	v_lshlrev_b64 v[9:10], 1, v[13:14]
	global_load_b32 v11, v[11:12], off
	v_add_co_u32 v9, vcc_lo, s26, v9
	v_add_co_ci_u32_e32 v10, vcc_lo, s27, v10, vcc_lo
	global_load_u16 v9, v[9:10], off
	s_waitcnt vmcnt(2)
	v_bfe_u32 v10, v15, v23, 4
	s_waitcnt vmcnt(1)
	v_lshrrev_b32_e32 v14, 12, v11
	v_lshrrev_b32_e32 v12, 4, v11
	s_delay_alu instid0(VALU_DEP_3)
	v_add_nc_u32_e32 v10, s38, v10
	v_lshrrev_b32_e32 v13, 8, v11
	v_and_or_b32 v11, v11, s20, 0x43004300
	v_and_or_b32 v14, v14, s20, 0x43004300
	;; [unrolled: 1-line block ×3, first 2 shown]
	v_cvt_f32_u32_e32 v10, v10
	v_and_or_b32 v13, v13, s20, 0x43004300
	s_delay_alu instid0(VALU_DEP_4) | instskip(SKIP_1) | instid1(VALU_DEP_3)
	v_lshlrev_b32_e32 v28, 16, v14
	s_waitcnt vmcnt(0)
	v_dual_add_f32 v10, 0x43000000, v10 :: v_dual_lshlrev_b32 v9, 16, v9
	v_and_b32_e32 v14, 0x430f0000, v14
	v_lshlrev_b32_e32 v16, 16, v12
	v_and_b32_e32 v12, 0x430f0000, v12
	v_lshlrev_b32_e32 v27, 16, v13
	v_mul_f32_e64 v10, v9, -v10
	v_lshlrev_b32_e32 v15, 16, v11
	v_and_b32_e32 v11, 0x430f0000, v11
	v_and_b32_e32 v13, 0x430f0000, v13
	s_delay_alu instid0(VALU_DEP_4) | instskip(NEXT) | instid1(VALU_DEP_4)
	v_fma_f32 v16, v16, v9, v10
	v_fma_f32 v15, v15, v9, v10
	s_delay_alu instid0(VALU_DEP_4)
	v_fma_f32 v11, v11, v9, v10
	v_fma_f32 v12, v12, v9, v10
	;; [unrolled: 1-line block ×5, first 2 shown]
	v_fmac_f32_e32 v10, v14, v9
	v_bfe_u32 v9, v15, 16, 1
	v_bfe_u32 v14, v11, 16, 1
	;; [unrolled: 1-line block ×8, first 2 shown]
	v_add3_u32 v9, v15, v9, 0x7fff
	v_add3_u32 v11, v11, v14, 0x7fff
	;; [unrolled: 1-line block ×8, first 2 shown]
	ds_store_b16_d16_hi v24, v9
	ds_store_b16_d16_hi v24, v11 offset:32
	ds_store_b16_d16_hi v24, v14 offset:64
	;; [unrolled: 1-line block ×7, first 2 shown]
.LBB7_6:                                ;   in Loop: Header=BB7_4 Depth=1
	s_or_b32 exec_lo, exec_lo, s4
	v_dual_mov_b32 v9, 0 :: v_dual_mov_b32 v10, 0
	v_dual_mov_b32 v11, 0 :: v_dual_mov_b32 v12, 0
	;; [unrolled: 1-line block ×4, first 2 shown]
	s_and_saveexec_b32 s21, s0
	s_cbranch_execz .LBB7_3
; %bb.7:                                ;   in Loop: Header=BB7_4 Depth=1
	s_and_not1_b32 vcc_lo, exec_lo, s40
	s_cbranch_vccnz .LBB7_9
; %bb.8:                                ;   in Loop: Header=BB7_4 Depth=1
	s_add_u32 s4, s42, 0xffffffc4
	s_addc_u32 s5, s43, -1
	s_load_b512 s[4:19], s[4:5], 0x0
	s_waitcnt lgkmcnt(0)
	s_ashr_i32 s45, s4, 31
	s_mov_b32 s44, s4
	s_ashr_i32 s47, s5, 31
	s_lshl_b64 s[44:45], s[44:45], 1
	s_mov_b32 s46, s5
	v_add_co_u32 v9, vcc_lo, v25, s44
	s_lshl_b64 s[46:47], s[46:47], 1
	s_ashr_i32 s5, s6, 31
	s_mov_b32 s4, s6
	v_add_co_ci_u32_e32 v10, vcc_lo, s45, v26, vcc_lo
	v_add_co_u32 v11, vcc_lo, v25, s46
	s_lshl_b64 s[4:5], s[4:5], 1
	s_ashr_i32 s49, s7, 31
	s_mov_b32 s48, s7
	v_add_co_ci_u32_e32 v12, vcc_lo, s47, v26, vcc_lo
	v_add_co_u32 v13, vcc_lo, v25, s4
	s_lshl_b64 s[48:49], s[48:49], 1
	s_ashr_i32 s7, s8, 31
	v_add_co_ci_u32_e32 v14, vcc_lo, s5, v26, vcc_lo
	s_mov_b32 s6, s8
	v_add_co_u32 v15, vcc_lo, v25, s48
	s_lshl_b64 s[4:5], s[6:7], 1
	v_add_co_ci_u32_e32 v16, vcc_lo, s49, v26, vcc_lo
	s_ashr_i32 s7, s9, 31
	s_mov_b32 s6, s9
	v_add_co_u32 v27, vcc_lo, v25, s4
	v_add_co_ci_u32_e32 v28, vcc_lo, s5, v26, vcc_lo
	s_lshl_b64 s[4:5], s[6:7], 1
	s_ashr_i32 s7, s10, 31
	s_mov_b32 s6, s10
	v_add_co_u32 v29, vcc_lo, v25, s4
	v_add_co_ci_u32_e32 v30, vcc_lo, s5, v26, vcc_lo
	s_lshl_b64 s[4:5], s[6:7], 1
	s_ashr_i32 s7, s11, 31
	s_mov_b32 s6, s11
	v_add_co_u32 v31, vcc_lo, v25, s4
	v_add_co_ci_u32_e32 v32, vcc_lo, s5, v26, vcc_lo
	s_lshl_b64 s[4:5], s[6:7], 1
	s_ashr_i32 s7, s13, 31
	v_add_co_u32 v33, vcc_lo, v25, s4
	v_add_co_ci_u32_e32 v34, vcc_lo, s5, v26, vcc_lo
	s_ashr_i32 s5, s12, 31
	s_mov_b32 s4, s12
	s_clause 0x7
	global_load_u16 v35, v[9:10], off
	global_load_u16 v36, v[11:12], off
	;; [unrolled: 1-line block ×8, first 2 shown]
	s_lshl_b64 s[4:5], s[4:5], 1
	s_mov_b32 s6, s13
	v_add_co_u32 v9, vcc_lo, v25, s4
	v_add_co_ci_u32_e32 v10, vcc_lo, s5, v26, vcc_lo
	s_lshl_b64 s[4:5], s[6:7], 1
	s_ashr_i32 s7, s14, 31
	s_mov_b32 s6, s14
	v_add_co_u32 v11, vcc_lo, v25, s4
	v_add_co_ci_u32_e32 v12, vcc_lo, s5, v26, vcc_lo
	s_lshl_b64 s[4:5], s[6:7], 1
	s_ashr_i32 s7, s15, 31
	;; [unrolled: 5-line block ×6, first 2 shown]
	s_mov_b32 s6, s19
	v_add_co_u32 v31, vcc_lo, v25, s4
	v_add_co_ci_u32_e32 v32, vcc_lo, s5, v26, vcc_lo
	s_lshl_b64 s[4:5], s[6:7], 1
	s_delay_alu instid0(SALU_CYCLE_1)
	v_add_co_u32 v33, vcc_lo, v25, s4
	v_add_co_ci_u32_e32 v34, vcc_lo, s5, v26, vcc_lo
	s_clause 0x7
	global_load_u16 v43, v[9:10], off
	global_load_u16 v44, v[11:12], off
	;; [unrolled: 1-line block ×8, first 2 shown]
	s_waitcnt vmcnt(14)
	v_perm_b32 v9, v36, v35, 0x5040100
	s_waitcnt vmcnt(12)
	v_perm_b32 v10, v38, v37, 0x5040100
	s_waitcnt vmcnt(10)
	v_perm_b32 v11, v40, v39, 0x5040100
	s_waitcnt vmcnt(8)
	v_perm_b32 v12, v42, v41, 0x5040100
	s_waitcnt vmcnt(6)
	v_perm_b32 v13, v44, v43, 0x5040100
	s_waitcnt vmcnt(4)
	v_perm_b32 v14, v15, v14, 0x5040100
	s_waitcnt vmcnt(2)
	v_perm_b32 v15, v27, v16, 0x5040100
	s_waitcnt vmcnt(0)
	v_perm_b32 v16, v29, v28, 0x5040100
	s_cbranch_execnz .LBB7_3
	s_branch .LBB7_10
.LBB7_9:                                ;   in Loop: Header=BB7_4 Depth=1
                                        ; implicit-def: $vgpr16
.LBB7_10:                               ;   in Loop: Header=BB7_4 Depth=1
	s_clause 0x1
	global_load_b128 v[9:12], v[19:20], off
	global_load_b128 v[13:16], v[19:20], off offset:16
	s_branch .LBB7_3
.LBB7_11:
	s_cmp_lt_u32 s33, 2
	s_mov_b32 s0, -1
	s_cbranch_scc0 .LBB7_62
; %bb.12:
	s_mov_b32 s0, exec_lo
	v_cmpx_gt_i32_e64 s29, v17
	s_cbranch_execz .LBB7_61
; %bb.13:
	v_ashrrev_i32_e32 v18, 31, v17
	v_add_nc_u32_e32 v11, s3, v21
	s_mov_b32 s1, exec_lo
	s_delay_alu instid0(VALU_DEP_2) | instskip(NEXT) | instid1(VALU_DEP_1)
	v_lshlrev_b64 v[9:10], 1, v[17:18]
	v_add_co_u32 v9, vcc_lo, s34, v9
	s_delay_alu instid0(VALU_DEP_2)
	v_add_co_ci_u32_e32 v10, vcc_lo, s35, v10, vcc_lo
	v_cmpx_gt_i32_e64 s28, v11
	s_cbranch_execz .LBB7_19
; %bb.14:
	v_and_b32_e32 v12, 0x7f800000, v1
	s_delay_alu instid0(VALU_DEP_1) | instskip(SKIP_1) | instid1(SALU_CYCLE_1)
	v_cmp_ne_u32_e32 vcc_lo, 0x7f800000, v12
                                        ; implicit-def: $vgpr12
	s_and_saveexec_b32 s2, vcc_lo
	s_xor_b32 s2, exec_lo, s2
; %bb.15:
	v_bfe_u32 v12, v1, 16, 1
	s_delay_alu instid0(VALU_DEP_1)
	v_add3_u32 v12, v1, v12, 0x7fff
; %bb.16:
	s_and_not1_saveexec_b32 s2, s2
; %bb.17:
	v_and_b32_e32 v12, 0xffff, v1
	v_or_b32_e32 v13, 0x10000, v1
	s_delay_alu instid0(VALU_DEP_2) | instskip(NEXT) | instid1(VALU_DEP_2)
	v_cmp_eq_u32_e32 vcc_lo, 0, v12
	v_cndmask_b32_e32 v12, v13, v1, vcc_lo
; %bb.18:
	s_or_b32 exec_lo, exec_lo, s2
	v_mul_lo_u32 v13, v11, s29
	s_delay_alu instid0(VALU_DEP_1) | instskip(NEXT) | instid1(VALU_DEP_1)
	v_ashrrev_i32_e32 v14, 31, v13
	v_lshlrev_b64 v[13:14], 1, v[13:14]
	s_delay_alu instid0(VALU_DEP_1) | instskip(NEXT) | instid1(VALU_DEP_2)
	v_add_co_u32 v13, vcc_lo, v9, v13
	v_add_co_ci_u32_e32 v14, vcc_lo, v10, v14, vcc_lo
	global_store_d16_hi_b16 v[13:14], v12, off
.LBB7_19:
	s_or_b32 exec_lo, exec_lo, s1
	v_add_nc_u32_e32 v12, 2, v11
	s_mov_b32 s1, exec_lo
	s_delay_alu instid0(VALU_DEP_1)
	v_cmpx_gt_i32_e64 s28, v12
	s_cbranch_execz .LBB7_25
; %bb.20:
	v_and_b32_e32 v13, 0x7f800000, v2
	s_delay_alu instid0(VALU_DEP_1) | instskip(SKIP_1) | instid1(SALU_CYCLE_1)
	v_cmp_ne_u32_e32 vcc_lo, 0x7f800000, v13
                                        ; implicit-def: $vgpr13
	s_and_saveexec_b32 s2, vcc_lo
	s_xor_b32 s2, exec_lo, s2
; %bb.21:
	v_bfe_u32 v13, v2, 16, 1
	s_delay_alu instid0(VALU_DEP_1)
	v_add3_u32 v13, v2, v13, 0x7fff
; %bb.22:
	s_and_not1_saveexec_b32 s2, s2
; %bb.23:
	v_and_b32_e32 v13, 0xffff, v2
	v_or_b32_e32 v14, 0x10000, v2
	s_delay_alu instid0(VALU_DEP_2) | instskip(NEXT) | instid1(VALU_DEP_2)
	v_cmp_eq_u32_e32 vcc_lo, 0, v13
	v_cndmask_b32_e32 v13, v14, v2, vcc_lo
; %bb.24:
	s_or_b32 exec_lo, exec_lo, s2
	v_mul_lo_u32 v14, v12, s29
	s_delay_alu instid0(VALU_DEP_1) | instskip(NEXT) | instid1(VALU_DEP_1)
	v_ashrrev_i32_e32 v15, 31, v14
	v_lshlrev_b64 v[14:15], 1, v[14:15]
	s_delay_alu instid0(VALU_DEP_1) | instskip(NEXT) | instid1(VALU_DEP_2)
	v_add_co_u32 v14, vcc_lo, v9, v14
	v_add_co_ci_u32_e32 v15, vcc_lo, v10, v15, vcc_lo
	global_store_d16_hi_b16 v[14:15], v13, off
.LBB7_25:
	s_or_b32 exec_lo, exec_lo, s1
	v_add_nc_u32_e32 v12, 4, v11
	s_mov_b32 s1, exec_lo
	s_delay_alu instid0(VALU_DEP_1)
	v_cmpx_gt_i32_e64 s28, v12
	s_cbranch_execz .LBB7_31
; %bb.26:
	v_and_b32_e32 v13, 0x7f800000, v3
	s_delay_alu instid0(VALU_DEP_1) | instskip(SKIP_1) | instid1(SALU_CYCLE_1)
	v_cmp_ne_u32_e32 vcc_lo, 0x7f800000, v13
                                        ; implicit-def: $vgpr13
	s_and_saveexec_b32 s2, vcc_lo
	s_xor_b32 s2, exec_lo, s2
; %bb.27:
	v_bfe_u32 v13, v3, 16, 1
	s_delay_alu instid0(VALU_DEP_1)
	v_add3_u32 v13, v3, v13, 0x7fff
; %bb.28:
	s_and_not1_saveexec_b32 s2, s2
; %bb.29:
	v_and_b32_e32 v13, 0xffff, v3
	v_or_b32_e32 v14, 0x10000, v3
	s_delay_alu instid0(VALU_DEP_2) | instskip(NEXT) | instid1(VALU_DEP_2)
	v_cmp_eq_u32_e32 vcc_lo, 0, v13
	v_cndmask_b32_e32 v13, v14, v3, vcc_lo
; %bb.30:
	s_or_b32 exec_lo, exec_lo, s2
	v_mul_lo_u32 v14, v12, s29
	s_delay_alu instid0(VALU_DEP_1) | instskip(NEXT) | instid1(VALU_DEP_1)
	v_ashrrev_i32_e32 v15, 31, v14
	v_lshlrev_b64 v[14:15], 1, v[14:15]
	s_delay_alu instid0(VALU_DEP_1) | instskip(NEXT) | instid1(VALU_DEP_2)
	v_add_co_u32 v14, vcc_lo, v9, v14
	v_add_co_ci_u32_e32 v15, vcc_lo, v10, v15, vcc_lo
	global_store_d16_hi_b16 v[14:15], v13, off
.LBB7_31:
	;; [unrolled: 36-line block ×6, first 2 shown]
	s_or_b32 exec_lo, exec_lo, s1
	v_add_nc_u32_e32 v11, 14, v11
	s_delay_alu instid0(VALU_DEP_1)
	v_cmp_gt_i32_e32 vcc_lo, s28, v11
	s_and_b32 exec_lo, exec_lo, vcc_lo
	s_cbranch_execz .LBB7_61
; %bb.56:
	v_and_b32_e32 v12, 0x7f800000, v8
	s_delay_alu instid0(VALU_DEP_1) | instskip(SKIP_1) | instid1(SALU_CYCLE_1)
	v_cmp_ne_u32_e32 vcc_lo, 0x7f800000, v12
                                        ; implicit-def: $vgpr12
	s_and_saveexec_b32 s1, vcc_lo
	s_xor_b32 s1, exec_lo, s1
; %bb.57:
	v_bfe_u32 v12, v8, 16, 1
	s_delay_alu instid0(VALU_DEP_1)
	v_add3_u32 v12, v8, v12, 0x7fff
; %bb.58:
	s_and_not1_saveexec_b32 s1, s1
; %bb.59:
	v_and_b32_e32 v12, 0xffff, v8
	v_or_b32_e32 v13, 0x10000, v8
	s_delay_alu instid0(VALU_DEP_2) | instskip(NEXT) | instid1(VALU_DEP_2)
	v_cmp_eq_u32_e32 vcc_lo, 0, v12
	v_cndmask_b32_e32 v12, v13, v8, vcc_lo
; %bb.60:
	s_or_b32 exec_lo, exec_lo, s1
	v_mul_lo_u32 v13, v11, s29
	s_delay_alu instid0(VALU_DEP_1) | instskip(NEXT) | instid1(VALU_DEP_1)
	v_ashrrev_i32_e32 v14, 31, v13
	v_lshlrev_b64 v[13:14], 1, v[13:14]
	s_delay_alu instid0(VALU_DEP_1) | instskip(NEXT) | instid1(VALU_DEP_2)
	v_add_co_u32 v9, vcc_lo, v9, v13
	v_add_co_ci_u32_e32 v10, vcc_lo, v10, v14, vcc_lo
	global_store_d16_hi_b16 v[9:10], v12, off
.LBB7_61:
	s_or_b32 exec_lo, exec_lo, s0
	s_mov_b32 s0, 0
.LBB7_62:
	s_delay_alu instid0(SALU_CYCLE_1)
	s_and_not1_b32 vcc_lo, exec_lo, s0
	s_cbranch_vccnz .LBB7_222
; %bb.63:
	v_mbcnt_lo_u32_b32 v9, -1, 0
	v_ashrrev_i32_e32 v18, 31, v17
	v_add_nc_u32_e32 v14, s3, v21
	v_and_b32_e32 v0, 1, v0
	s_delay_alu instid0(VALU_DEP_4) | instskip(NEXT) | instid1(VALU_DEP_4)
	v_xor_b32_e32 v10, 1, v9
	v_lshlrev_b64 v[11:12], 1, v[17:18]
	s_delay_alu instid0(VALU_DEP_4) | instskip(NEXT) | instid1(VALU_DEP_4)
	v_cmp_gt_i32_e64 s1, s28, v14
	v_cmp_eq_u32_e64 s0, 0, v0
	s_delay_alu instid0(VALU_DEP_4) | instskip(NEXT) | instid1(VALU_DEP_4)
	v_cmp_gt_i32_e32 vcc_lo, 32, v10
	v_add_co_u32 v11, s2, s34, v11
	s_delay_alu instid0(VALU_DEP_1) | instskip(SKIP_3) | instid1(VALU_DEP_2)
	v_add_co_ci_u32_e64 v12, s2, s35, v12, s2
	v_cndmask_b32_e32 v9, v9, v10, vcc_lo
	v_cmp_gt_i32_e32 vcc_lo, s29, v17
	s_and_b32 s1, s0, s1
	v_lshlrev_b32_e32 v13, 2, v9
	s_and_b32 s1, s1, vcc_lo
	ds_bpermute_b32 v9, v13, v1
	s_and_saveexec_b32 s2, s1
	s_cbranch_execz .LBB7_82
; %bb.64:
	v_and_b32_e32 v0, 0x7f800000, v1
                                        ; implicit-def: $vgpr15
	s_delay_alu instid0(VALU_DEP_1) | instskip(NEXT) | instid1(VALU_DEP_1)
	v_cmp_ne_u32_e64 s1, 0x7f800000, v0
	s_and_saveexec_b32 s3, s1
	s_delay_alu instid0(SALU_CYCLE_1)
	s_xor_b32 s1, exec_lo, s3
; %bb.65:
	v_bfe_u32 v0, v1, 16, 1
	s_delay_alu instid0(VALU_DEP_1)
	v_add3_u32 v15, v1, v0, 0x7fff
; %bb.66:
	s_and_not1_saveexec_b32 s3, s1
; %bb.67:
	v_and_b32_e32 v0, 0xffff, v1
	v_or_b32_e32 v10, 0x10000, v1
	s_delay_alu instid0(VALU_DEP_2) | instskip(NEXT) | instid1(VALU_DEP_1)
	v_cmp_eq_u32_e64 s1, 0, v0
	v_cndmask_b32_e64 v15, v10, v1, s1
; %bb.68:
	s_or_b32 exec_lo, exec_lo, s3
	s_waitcnt lgkmcnt(0)
	v_and_b32_e32 v0, 0x7f800000, v9
                                        ; implicit-def: $vgpr16
	s_delay_alu instid0(VALU_DEP_1) | instskip(NEXT) | instid1(VALU_DEP_1)
	v_cmp_ne_u32_e64 s1, 0x7f800000, v0
	s_and_saveexec_b32 s3, s1
	s_delay_alu instid0(SALU_CYCLE_1)
	s_xor_b32 s1, exec_lo, s3
; %bb.69:
	v_bfe_u32 v0, v9, 16, 1
	s_delay_alu instid0(VALU_DEP_1)
	v_add3_u32 v16, v9, v0, 0x7fff
                                        ; implicit-def: $vgpr9
; %bb.70:
	s_and_not1_saveexec_b32 s3, s1
; %bb.71:
	v_and_b32_e32 v0, 0xffff, v9
	v_or_b32_e32 v1, 0x10000, v9
	s_delay_alu instid0(VALU_DEP_2) | instskip(NEXT) | instid1(VALU_DEP_1)
	v_cmp_eq_u32_e64 s1, 0, v0
	v_cndmask_b32_e64 v16, v1, v9, s1
; %bb.72:
	s_or_b32 exec_lo, exec_lo, s3
	v_mul_lo_u32 v0, v14, s29
	v_and_b32_e32 v15, 0xffff0000, v15
	s_delay_alu instid0(VALU_DEP_3) | instskip(SKIP_1) | instid1(VALU_DEP_3)
	v_and_b32_e32 v16, 0xffff0000, v16
	s_mov_b32 s3, 0
	v_ashrrev_i32_e32 v1, 31, v0
	s_delay_alu instid0(VALU_DEP_1) | instskip(NEXT) | instid1(VALU_DEP_1)
	v_lshlrev_b64 v[0:1], 1, v[0:1]
	v_add_co_u32 v0, s1, v11, v0
	s_delay_alu instid0(VALU_DEP_1)
	v_add_co_ci_u32_e64 v1, s1, v12, v1, s1
	global_load_b32 v10, v[0:1], off
	s_branch .LBB7_74
.LBB7_73:                               ;   in Loop: Header=BB7_74 Depth=1
	s_or_b32 exec_lo, exec_lo, s4
	v_lshrrev_b32_e32 v9, 16, v9
	s_delay_alu instid0(VALU_DEP_1) | instskip(SKIP_4) | instid1(VALU_DEP_2)
	v_and_or_b32 v9, 0xffff0000, v18, v9
	global_atomic_cmpswap_b32 v9, v[0:1], v[9:10], off glc
	s_waitcnt vmcnt(0)
	v_cmp_eq_u32_e64 s1, v9, v10
	v_mov_b32_e32 v10, v9
	s_or_b32 s3, s1, s3
	s_delay_alu instid0(SALU_CYCLE_1)
	s_and_not1_b32 exec_lo, exec_lo, s3
	s_cbranch_execz .LBB7_82
.LBB7_74:                               ; =>This Inner Loop Header: Depth=1
	s_waitcnt vmcnt(0)
	v_lshlrev_b32_e32 v9, 16, v10
	s_delay_alu instid0(VALU_DEP_1) | instskip(NEXT) | instid1(VALU_DEP_1)
	v_add_f32_e32 v17, v15, v9
	v_and_b32_e32 v9, 0x7f800000, v17
	s_delay_alu instid0(VALU_DEP_1) | instskip(NEXT) | instid1(VALU_DEP_1)
	v_cmp_ne_u32_e64 s1, 0x7f800000, v9
                                        ; implicit-def: $vgpr9
	s_and_saveexec_b32 s4, s1
	s_delay_alu instid0(SALU_CYCLE_1)
	s_xor_b32 s1, exec_lo, s4
; %bb.75:                               ;   in Loop: Header=BB7_74 Depth=1
	v_bfe_u32 v9, v17, 16, 1
	s_delay_alu instid0(VALU_DEP_1)
	v_add3_u32 v9, v17, v9, 0x7fff
                                        ; implicit-def: $vgpr17
; %bb.76:                               ;   in Loop: Header=BB7_74 Depth=1
	s_and_not1_saveexec_b32 s4, s1
; %bb.77:                               ;   in Loop: Header=BB7_74 Depth=1
	v_and_b32_e32 v9, 0xffff, v17
	v_or_b32_e32 v18, 0x10000, v17
	s_delay_alu instid0(VALU_DEP_2) | instskip(NEXT) | instid1(VALU_DEP_1)
	v_cmp_eq_u32_e64 s1, 0, v9
	v_cndmask_b32_e64 v9, v18, v17, s1
; %bb.78:                               ;   in Loop: Header=BB7_74 Depth=1
	s_or_b32 exec_lo, exec_lo, s4
	v_and_b32_e32 v17, 0xffff0000, v10
	s_delay_alu instid0(VALU_DEP_1) | instskip(NEXT) | instid1(VALU_DEP_1)
	v_add_f32_e32 v17, v16, v17
	v_and_b32_e32 v18, 0x7f800000, v17
	s_delay_alu instid0(VALU_DEP_1) | instskip(NEXT) | instid1(VALU_DEP_1)
	v_cmp_ne_u32_e64 s1, 0x7f800000, v18
                                        ; implicit-def: $vgpr18
	s_and_saveexec_b32 s4, s1
	s_delay_alu instid0(SALU_CYCLE_1)
	s_xor_b32 s1, exec_lo, s4
; %bb.79:                               ;   in Loop: Header=BB7_74 Depth=1
	v_bfe_u32 v18, v17, 16, 1
	s_delay_alu instid0(VALU_DEP_1)
	v_add3_u32 v18, v17, v18, 0x7fff
                                        ; implicit-def: $vgpr17
; %bb.80:                               ;   in Loop: Header=BB7_74 Depth=1
	s_and_not1_saveexec_b32 s4, s1
	s_cbranch_execz .LBB7_73
; %bb.81:                               ;   in Loop: Header=BB7_74 Depth=1
	v_and_b32_e32 v18, 0xffff, v17
	v_or_b32_e32 v19, 0x10000, v17
	s_delay_alu instid0(VALU_DEP_2) | instskip(NEXT) | instid1(VALU_DEP_1)
	v_cmp_eq_u32_e64 s1, 0, v18
	v_cndmask_b32_e64 v18, v19, v17, s1
	s_branch .LBB7_73
.LBB7_82:
	s_or_b32 exec_lo, exec_lo, s2
	ds_bpermute_b32 v1, v13, v2
	s_and_saveexec_b32 s2, s0
	s_cbranch_execz .LBB7_102
; %bb.83:
	v_add_nc_u32_e32 v0, 2, v14
	s_delay_alu instid0(VALU_DEP_1) | instskip(NEXT) | instid1(VALU_DEP_1)
	v_cmp_gt_i32_e64 s1, s28, v0
	s_and_b32 s1, s1, vcc_lo
	s_delay_alu instid0(SALU_CYCLE_1)
	s_and_b32 exec_lo, exec_lo, s1
	s_cbranch_execz .LBB7_102
; %bb.84:
	s_waitcnt lgkmcnt(1)
	v_and_b32_e32 v9, 0x7f800000, v2
	s_delay_alu instid0(VALU_DEP_1) | instskip(NEXT) | instid1(VALU_DEP_1)
	v_cmp_ne_u32_e64 s1, 0x7f800000, v9
                                        ; implicit-def: $vgpr9
	s_and_saveexec_b32 s3, s1
	s_delay_alu instid0(SALU_CYCLE_1)
	s_xor_b32 s1, exec_lo, s3
; %bb.85:
	v_bfe_u32 v9, v2, 16, 1
	s_delay_alu instid0(VALU_DEP_1)
	v_add3_u32 v9, v2, v9, 0x7fff
; %bb.86:
	s_and_not1_saveexec_b32 s3, s1
; %bb.87:
	v_and_b32_e32 v9, 0xffff, v2
	v_or_b32_e32 v10, 0x10000, v2
	s_delay_alu instid0(VALU_DEP_2) | instskip(NEXT) | instid1(VALU_DEP_1)
	v_cmp_eq_u32_e64 s1, 0, v9
	v_cndmask_b32_e64 v9, v10, v2, s1
; %bb.88:
	s_or_b32 exec_lo, exec_lo, s3
	s_waitcnt lgkmcnt(0)
	v_and_b32_e32 v2, 0x7f800000, v1
                                        ; implicit-def: $vgpr15
	s_delay_alu instid0(VALU_DEP_1) | instskip(NEXT) | instid1(VALU_DEP_1)
	v_cmp_ne_u32_e64 s1, 0x7f800000, v2
	s_and_saveexec_b32 s3, s1
	s_delay_alu instid0(SALU_CYCLE_1)
	s_xor_b32 s1, exec_lo, s3
; %bb.89:
	v_bfe_u32 v2, v1, 16, 1
	s_delay_alu instid0(VALU_DEP_1)
	v_add3_u32 v15, v1, v2, 0x7fff
                                        ; implicit-def: $vgpr1
; %bb.90:
	s_and_not1_saveexec_b32 s3, s1
; %bb.91:
	v_and_b32_e32 v2, 0xffff, v1
	v_or_b32_e32 v10, 0x10000, v1
	s_delay_alu instid0(VALU_DEP_2) | instskip(NEXT) | instid1(VALU_DEP_1)
	v_cmp_eq_u32_e64 s1, 0, v2
	v_cndmask_b32_e64 v15, v10, v1, s1
; %bb.92:
	s_or_b32 exec_lo, exec_lo, s3
	v_mul_lo_u32 v0, v0, s29
	v_and_b32_e32 v2, 0xffff0000, v9
	s_delay_alu instid0(VALU_DEP_3) | instskip(SKIP_1) | instid1(VALU_DEP_3)
	v_and_b32_e32 v15, 0xffff0000, v15
	s_mov_b32 s3, 0
	v_ashrrev_i32_e32 v1, 31, v0
	s_delay_alu instid0(VALU_DEP_1) | instskip(NEXT) | instid1(VALU_DEP_1)
	v_lshlrev_b64 v[0:1], 1, v[0:1]
	v_add_co_u32 v0, s1, v11, v0
	s_delay_alu instid0(VALU_DEP_1)
	v_add_co_ci_u32_e64 v1, s1, v12, v1, s1
	global_load_b32 v10, v[0:1], off
	s_branch .LBB7_94
.LBB7_93:                               ;   in Loop: Header=BB7_94 Depth=1
	s_or_b32 exec_lo, exec_lo, s4
	v_lshrrev_b32_e32 v9, 16, v9
	s_delay_alu instid0(VALU_DEP_1) | instskip(SKIP_4) | instid1(VALU_DEP_2)
	v_and_or_b32 v9, 0xffff0000, v17, v9
	global_atomic_cmpswap_b32 v9, v[0:1], v[9:10], off glc
	s_waitcnt vmcnt(0)
	v_cmp_eq_u32_e64 s1, v9, v10
	v_mov_b32_e32 v10, v9
	s_or_b32 s3, s1, s3
	s_delay_alu instid0(SALU_CYCLE_1)
	s_and_not1_b32 exec_lo, exec_lo, s3
	s_cbranch_execz .LBB7_102
.LBB7_94:                               ; =>This Inner Loop Header: Depth=1
	s_waitcnt vmcnt(0)
	v_lshlrev_b32_e32 v9, 16, v10
	s_delay_alu instid0(VALU_DEP_1) | instskip(NEXT) | instid1(VALU_DEP_1)
	v_add_f32_e32 v16, v2, v9
	v_and_b32_e32 v9, 0x7f800000, v16
	s_delay_alu instid0(VALU_DEP_1) | instskip(NEXT) | instid1(VALU_DEP_1)
	v_cmp_ne_u32_e64 s1, 0x7f800000, v9
                                        ; implicit-def: $vgpr9
	s_and_saveexec_b32 s4, s1
	s_delay_alu instid0(SALU_CYCLE_1)
	s_xor_b32 s1, exec_lo, s4
; %bb.95:                               ;   in Loop: Header=BB7_94 Depth=1
	v_bfe_u32 v9, v16, 16, 1
	s_delay_alu instid0(VALU_DEP_1)
	v_add3_u32 v9, v16, v9, 0x7fff
                                        ; implicit-def: $vgpr16
; %bb.96:                               ;   in Loop: Header=BB7_94 Depth=1
	s_and_not1_saveexec_b32 s4, s1
; %bb.97:                               ;   in Loop: Header=BB7_94 Depth=1
	v_and_b32_e32 v9, 0xffff, v16
	v_or_b32_e32 v17, 0x10000, v16
	s_delay_alu instid0(VALU_DEP_2) | instskip(NEXT) | instid1(VALU_DEP_1)
	v_cmp_eq_u32_e64 s1, 0, v9
	v_cndmask_b32_e64 v9, v17, v16, s1
; %bb.98:                               ;   in Loop: Header=BB7_94 Depth=1
	s_or_b32 exec_lo, exec_lo, s4
	v_and_b32_e32 v16, 0xffff0000, v10
	s_delay_alu instid0(VALU_DEP_1) | instskip(NEXT) | instid1(VALU_DEP_1)
	v_add_f32_e32 v16, v15, v16
	v_and_b32_e32 v17, 0x7f800000, v16
	s_delay_alu instid0(VALU_DEP_1) | instskip(NEXT) | instid1(VALU_DEP_1)
	v_cmp_ne_u32_e64 s1, 0x7f800000, v17
                                        ; implicit-def: $vgpr17
	s_and_saveexec_b32 s4, s1
	s_delay_alu instid0(SALU_CYCLE_1)
	s_xor_b32 s1, exec_lo, s4
; %bb.99:                               ;   in Loop: Header=BB7_94 Depth=1
	v_bfe_u32 v17, v16, 16, 1
	s_delay_alu instid0(VALU_DEP_1)
	v_add3_u32 v17, v16, v17, 0x7fff
                                        ; implicit-def: $vgpr16
; %bb.100:                              ;   in Loop: Header=BB7_94 Depth=1
	s_and_not1_saveexec_b32 s4, s1
	s_cbranch_execz .LBB7_93
; %bb.101:                              ;   in Loop: Header=BB7_94 Depth=1
	v_and_b32_e32 v17, 0xffff, v16
	v_or_b32_e32 v18, 0x10000, v16
	s_delay_alu instid0(VALU_DEP_2) | instskip(NEXT) | instid1(VALU_DEP_1)
	v_cmp_eq_u32_e64 s1, 0, v17
	v_cndmask_b32_e64 v17, v18, v16, s1
	s_branch .LBB7_93
.LBB7_102:
	s_or_b32 exec_lo, exec_lo, s2
	s_waitcnt lgkmcnt(0)
	ds_bpermute_b32 v1, v13, v3
	s_and_saveexec_b32 s2, s0
	s_cbranch_execz .LBB7_122
; %bb.103:
	v_add_nc_u32_e32 v0, 4, v14
	s_delay_alu instid0(VALU_DEP_1) | instskip(NEXT) | instid1(VALU_DEP_1)
	v_cmp_gt_i32_e64 s1, s28, v0
	s_and_b32 s1, s1, vcc_lo
	s_delay_alu instid0(SALU_CYCLE_1)
	s_and_b32 exec_lo, exec_lo, s1
	s_cbranch_execz .LBB7_122
; %bb.104:
	v_and_b32_e32 v2, 0x7f800000, v3
	s_delay_alu instid0(VALU_DEP_1) | instskip(NEXT) | instid1(VALU_DEP_1)
	v_cmp_ne_u32_e64 s1, 0x7f800000, v2
                                        ; implicit-def: $vgpr2
	s_and_saveexec_b32 s3, s1
	s_delay_alu instid0(SALU_CYCLE_1)
	s_xor_b32 s1, exec_lo, s3
; %bb.105:
	v_bfe_u32 v2, v3, 16, 1
	s_delay_alu instid0(VALU_DEP_1)
	v_add3_u32 v2, v3, v2, 0x7fff
; %bb.106:
	s_and_not1_saveexec_b32 s3, s1
; %bb.107:
	v_and_b32_e32 v2, 0xffff, v3
	v_or_b32_e32 v9, 0x10000, v3
	s_delay_alu instid0(VALU_DEP_2) | instskip(NEXT) | instid1(VALU_DEP_1)
	v_cmp_eq_u32_e64 s1, 0, v2
	v_cndmask_b32_e64 v2, v9, v3, s1
; %bb.108:
	s_or_b32 exec_lo, exec_lo, s3
	s_waitcnt lgkmcnt(0)
	v_and_b32_e32 v3, 0x7f800000, v1
                                        ; implicit-def: $vgpr10
	s_delay_alu instid0(VALU_DEP_1) | instskip(NEXT) | instid1(VALU_DEP_1)
	v_cmp_ne_u32_e64 s1, 0x7f800000, v3
	s_and_saveexec_b32 s3, s1
	s_delay_alu instid0(SALU_CYCLE_1)
	s_xor_b32 s1, exec_lo, s3
; %bb.109:
	v_bfe_u32 v3, v1, 16, 1
	s_delay_alu instid0(VALU_DEP_1)
	v_add3_u32 v10, v1, v3, 0x7fff
                                        ; implicit-def: $vgpr1
; %bb.110:
	s_and_not1_saveexec_b32 s3, s1
; %bb.111:
	v_and_b32_e32 v3, 0xffff, v1
	v_or_b32_e32 v9, 0x10000, v1
	s_delay_alu instid0(VALU_DEP_2) | instskip(NEXT) | instid1(VALU_DEP_1)
	v_cmp_eq_u32_e64 s1, 0, v3
	v_cndmask_b32_e64 v10, v9, v1, s1
; %bb.112:
	s_or_b32 exec_lo, exec_lo, s3
	v_mul_lo_u32 v0, v0, s29
	v_and_b32_e32 v9, 0xffff0000, v2
	s_delay_alu instid0(VALU_DEP_3) | instskip(SKIP_1) | instid1(VALU_DEP_3)
	v_and_b32_e32 v10, 0xffff0000, v10
	s_mov_b32 s3, 0
	v_ashrrev_i32_e32 v1, 31, v0
	s_delay_alu instid0(VALU_DEP_1) | instskip(NEXT) | instid1(VALU_DEP_1)
	v_lshlrev_b64 v[0:1], 1, v[0:1]
	v_add_co_u32 v0, s1, v11, v0
	s_delay_alu instid0(VALU_DEP_1)
	v_add_co_ci_u32_e64 v1, s1, v12, v1, s1
	global_load_b32 v3, v[0:1], off
	s_branch .LBB7_114
.LBB7_113:                              ;   in Loop: Header=BB7_114 Depth=1
	s_or_b32 exec_lo, exec_lo, s4
	v_lshrrev_b32_e32 v2, 16, v2
	s_delay_alu instid0(VALU_DEP_1) | instskip(SKIP_4) | instid1(VALU_DEP_2)
	v_and_or_b32 v2, 0xffff0000, v16, v2
	global_atomic_cmpswap_b32 v2, v[0:1], v[2:3], off glc
	s_waitcnt vmcnt(0)
	v_cmp_eq_u32_e64 s1, v2, v3
	v_mov_b32_e32 v3, v2
	s_or_b32 s3, s1, s3
	s_delay_alu instid0(SALU_CYCLE_1)
	s_and_not1_b32 exec_lo, exec_lo, s3
	s_cbranch_execz .LBB7_122
.LBB7_114:                              ; =>This Inner Loop Header: Depth=1
	s_waitcnt vmcnt(0)
	v_lshlrev_b32_e32 v2, 16, v3
	s_delay_alu instid0(VALU_DEP_1) | instskip(NEXT) | instid1(VALU_DEP_1)
	v_add_f32_e32 v15, v9, v2
	v_and_b32_e32 v2, 0x7f800000, v15
	s_delay_alu instid0(VALU_DEP_1) | instskip(NEXT) | instid1(VALU_DEP_1)
	v_cmp_ne_u32_e64 s1, 0x7f800000, v2
                                        ; implicit-def: $vgpr2
	s_and_saveexec_b32 s4, s1
	s_delay_alu instid0(SALU_CYCLE_1)
	s_xor_b32 s1, exec_lo, s4
; %bb.115:                              ;   in Loop: Header=BB7_114 Depth=1
	v_bfe_u32 v2, v15, 16, 1
	s_delay_alu instid0(VALU_DEP_1)
	v_add3_u32 v2, v15, v2, 0x7fff
                                        ; implicit-def: $vgpr15
; %bb.116:                              ;   in Loop: Header=BB7_114 Depth=1
	s_and_not1_saveexec_b32 s4, s1
; %bb.117:                              ;   in Loop: Header=BB7_114 Depth=1
	v_and_b32_e32 v2, 0xffff, v15
	v_or_b32_e32 v16, 0x10000, v15
	s_delay_alu instid0(VALU_DEP_2) | instskip(NEXT) | instid1(VALU_DEP_1)
	v_cmp_eq_u32_e64 s1, 0, v2
	v_cndmask_b32_e64 v2, v16, v15, s1
; %bb.118:                              ;   in Loop: Header=BB7_114 Depth=1
	s_or_b32 exec_lo, exec_lo, s4
	v_and_b32_e32 v15, 0xffff0000, v3
	s_delay_alu instid0(VALU_DEP_1) | instskip(NEXT) | instid1(VALU_DEP_1)
	v_add_f32_e32 v15, v10, v15
	v_and_b32_e32 v16, 0x7f800000, v15
	s_delay_alu instid0(VALU_DEP_1) | instskip(NEXT) | instid1(VALU_DEP_1)
	v_cmp_ne_u32_e64 s1, 0x7f800000, v16
                                        ; implicit-def: $vgpr16
	s_and_saveexec_b32 s4, s1
	s_delay_alu instid0(SALU_CYCLE_1)
	s_xor_b32 s1, exec_lo, s4
; %bb.119:                              ;   in Loop: Header=BB7_114 Depth=1
	v_bfe_u32 v16, v15, 16, 1
	s_delay_alu instid0(VALU_DEP_1)
	v_add3_u32 v16, v15, v16, 0x7fff
                                        ; implicit-def: $vgpr15
; %bb.120:                              ;   in Loop: Header=BB7_114 Depth=1
	s_and_not1_saveexec_b32 s4, s1
	s_cbranch_execz .LBB7_113
; %bb.121:                              ;   in Loop: Header=BB7_114 Depth=1
	v_and_b32_e32 v16, 0xffff, v15
	v_or_b32_e32 v17, 0x10000, v15
	s_delay_alu instid0(VALU_DEP_2) | instskip(NEXT) | instid1(VALU_DEP_1)
	v_cmp_eq_u32_e64 s1, 0, v16
	v_cndmask_b32_e64 v16, v17, v15, s1
	s_branch .LBB7_113
.LBB7_122:
	s_or_b32 exec_lo, exec_lo, s2
	s_waitcnt lgkmcnt(0)
	ds_bpermute_b32 v1, v13, v4
	s_and_saveexec_b32 s2, s0
	s_cbranch_execz .LBB7_142
; %bb.123:
	v_add_nc_u32_e32 v0, 6, v14
	s_delay_alu instid0(VALU_DEP_1) | instskip(NEXT) | instid1(VALU_DEP_1)
	v_cmp_gt_i32_e64 s1, s28, v0
	s_and_b32 s1, s1, vcc_lo
	s_delay_alu instid0(SALU_CYCLE_1)
	s_and_b32 exec_lo, exec_lo, s1
	s_cbranch_execz .LBB7_142
; %bb.124:
	v_and_b32_e32 v2, 0x7f800000, v4
	s_delay_alu instid0(VALU_DEP_1) | instskip(NEXT) | instid1(VALU_DEP_1)
	v_cmp_ne_u32_e64 s1, 0x7f800000, v2
                                        ; implicit-def: $vgpr2
	s_and_saveexec_b32 s3, s1
	s_delay_alu instid0(SALU_CYCLE_1)
	s_xor_b32 s1, exec_lo, s3
; %bb.125:
	v_bfe_u32 v2, v4, 16, 1
	s_delay_alu instid0(VALU_DEP_1)
	v_add3_u32 v2, v4, v2, 0x7fff
; %bb.126:
	s_and_not1_saveexec_b32 s3, s1
; %bb.127:
	v_and_b32_e32 v2, 0xffff, v4
	v_or_b32_e32 v3, 0x10000, v4
	s_delay_alu instid0(VALU_DEP_2) | instskip(NEXT) | instid1(VALU_DEP_1)
	v_cmp_eq_u32_e64 s1, 0, v2
	v_cndmask_b32_e64 v2, v3, v4, s1
; %bb.128:
	s_or_b32 exec_lo, exec_lo, s3
	s_waitcnt lgkmcnt(0)
	v_and_b32_e32 v3, 0x7f800000, v1
                                        ; implicit-def: $vgpr9
	s_delay_alu instid0(VALU_DEP_1) | instskip(NEXT) | instid1(VALU_DEP_1)
	v_cmp_ne_u32_e64 s1, 0x7f800000, v3
	s_and_saveexec_b32 s3, s1
	s_delay_alu instid0(SALU_CYCLE_1)
	s_xor_b32 s1, exec_lo, s3
; %bb.129:
	v_bfe_u32 v3, v1, 16, 1
	s_delay_alu instid0(VALU_DEP_1)
	v_add3_u32 v9, v1, v3, 0x7fff
                                        ; implicit-def: $vgpr1
; %bb.130:
	s_and_not1_saveexec_b32 s3, s1
; %bb.131:
	v_and_b32_e32 v3, 0xffff, v1
	v_or_b32_e32 v4, 0x10000, v1
	s_delay_alu instid0(VALU_DEP_2) | instskip(NEXT) | instid1(VALU_DEP_1)
	v_cmp_eq_u32_e64 s1, 0, v3
	v_cndmask_b32_e64 v9, v4, v1, s1
; %bb.132:
	s_or_b32 exec_lo, exec_lo, s3
	v_mul_lo_u32 v0, v0, s29
	v_and_b32_e32 v4, 0xffff0000, v2
	s_delay_alu instid0(VALU_DEP_3) | instskip(SKIP_1) | instid1(VALU_DEP_3)
	v_and_b32_e32 v9, 0xffff0000, v9
	s_mov_b32 s3, 0
	v_ashrrev_i32_e32 v1, 31, v0
	s_delay_alu instid0(VALU_DEP_1) | instskip(NEXT) | instid1(VALU_DEP_1)
	v_lshlrev_b64 v[0:1], 1, v[0:1]
	v_add_co_u32 v0, s1, v11, v0
	s_delay_alu instid0(VALU_DEP_1)
	v_add_co_ci_u32_e64 v1, s1, v12, v1, s1
	global_load_b32 v3, v[0:1], off
	s_branch .LBB7_134
.LBB7_133:                              ;   in Loop: Header=BB7_134 Depth=1
	s_or_b32 exec_lo, exec_lo, s4
	v_lshrrev_b32_e32 v2, 16, v2
	s_delay_alu instid0(VALU_DEP_1) | instskip(SKIP_4) | instid1(VALU_DEP_2)
	v_and_or_b32 v2, 0xffff0000, v15, v2
	global_atomic_cmpswap_b32 v2, v[0:1], v[2:3], off glc
	s_waitcnt vmcnt(0)
	v_cmp_eq_u32_e64 s1, v2, v3
	v_mov_b32_e32 v3, v2
	s_or_b32 s3, s1, s3
	s_delay_alu instid0(SALU_CYCLE_1)
	s_and_not1_b32 exec_lo, exec_lo, s3
	s_cbranch_execz .LBB7_142
.LBB7_134:                              ; =>This Inner Loop Header: Depth=1
	s_waitcnt vmcnt(0)
	v_lshlrev_b32_e32 v2, 16, v3
	s_delay_alu instid0(VALU_DEP_1) | instskip(NEXT) | instid1(VALU_DEP_1)
	v_add_f32_e32 v10, v4, v2
	v_and_b32_e32 v2, 0x7f800000, v10
	s_delay_alu instid0(VALU_DEP_1) | instskip(NEXT) | instid1(VALU_DEP_1)
	v_cmp_ne_u32_e64 s1, 0x7f800000, v2
                                        ; implicit-def: $vgpr2
	s_and_saveexec_b32 s4, s1
	s_delay_alu instid0(SALU_CYCLE_1)
	s_xor_b32 s1, exec_lo, s4
; %bb.135:                              ;   in Loop: Header=BB7_134 Depth=1
	v_bfe_u32 v2, v10, 16, 1
	s_delay_alu instid0(VALU_DEP_1)
	v_add3_u32 v2, v10, v2, 0x7fff
                                        ; implicit-def: $vgpr10
; %bb.136:                              ;   in Loop: Header=BB7_134 Depth=1
	s_and_not1_saveexec_b32 s4, s1
; %bb.137:                              ;   in Loop: Header=BB7_134 Depth=1
	v_and_b32_e32 v2, 0xffff, v10
	v_or_b32_e32 v15, 0x10000, v10
	s_delay_alu instid0(VALU_DEP_2) | instskip(NEXT) | instid1(VALU_DEP_1)
	v_cmp_eq_u32_e64 s1, 0, v2
	v_cndmask_b32_e64 v2, v15, v10, s1
; %bb.138:                              ;   in Loop: Header=BB7_134 Depth=1
	s_or_b32 exec_lo, exec_lo, s4
	v_and_b32_e32 v10, 0xffff0000, v3
	s_delay_alu instid0(VALU_DEP_1) | instskip(NEXT) | instid1(VALU_DEP_1)
	v_add_f32_e32 v10, v9, v10
	v_and_b32_e32 v15, 0x7f800000, v10
	s_delay_alu instid0(VALU_DEP_1) | instskip(NEXT) | instid1(VALU_DEP_1)
	v_cmp_ne_u32_e64 s1, 0x7f800000, v15
                                        ; implicit-def: $vgpr15
	s_and_saveexec_b32 s4, s1
	s_delay_alu instid0(SALU_CYCLE_1)
	s_xor_b32 s1, exec_lo, s4
; %bb.139:                              ;   in Loop: Header=BB7_134 Depth=1
	v_bfe_u32 v15, v10, 16, 1
	s_delay_alu instid0(VALU_DEP_1)
	v_add3_u32 v15, v10, v15, 0x7fff
                                        ; implicit-def: $vgpr10
; %bb.140:                              ;   in Loop: Header=BB7_134 Depth=1
	s_and_not1_saveexec_b32 s4, s1
	s_cbranch_execz .LBB7_133
; %bb.141:                              ;   in Loop: Header=BB7_134 Depth=1
	v_and_b32_e32 v15, 0xffff, v10
	v_or_b32_e32 v16, 0x10000, v10
	s_delay_alu instid0(VALU_DEP_2) | instskip(NEXT) | instid1(VALU_DEP_1)
	v_cmp_eq_u32_e64 s1, 0, v15
	v_cndmask_b32_e64 v15, v16, v10, s1
	s_branch .LBB7_133
.LBB7_142:
	s_or_b32 exec_lo, exec_lo, s2
	s_waitcnt lgkmcnt(0)
	ds_bpermute_b32 v1, v13, v5
	s_and_saveexec_b32 s2, s0
	s_cbranch_execz .LBB7_162
; %bb.143:
	v_add_nc_u32_e32 v0, 8, v14
	s_delay_alu instid0(VALU_DEP_1) | instskip(NEXT) | instid1(VALU_DEP_1)
	v_cmp_gt_i32_e64 s1, s28, v0
	s_and_b32 s1, s1, vcc_lo
	s_delay_alu instid0(SALU_CYCLE_1)
	s_and_b32 exec_lo, exec_lo, s1
	s_cbranch_execz .LBB7_162
; %bb.144:
	v_and_b32_e32 v2, 0x7f800000, v5
	s_delay_alu instid0(VALU_DEP_1) | instskip(NEXT) | instid1(VALU_DEP_1)
	v_cmp_ne_u32_e64 s1, 0x7f800000, v2
                                        ; implicit-def: $vgpr2
	s_and_saveexec_b32 s3, s1
	s_delay_alu instid0(SALU_CYCLE_1)
	s_xor_b32 s1, exec_lo, s3
; %bb.145:
	v_bfe_u32 v2, v5, 16, 1
	s_delay_alu instid0(VALU_DEP_1)
	v_add3_u32 v2, v5, v2, 0x7fff
; %bb.146:
	s_and_not1_saveexec_b32 s3, s1
; %bb.147:
	v_and_b32_e32 v2, 0xffff, v5
	v_or_b32_e32 v3, 0x10000, v5
	s_delay_alu instid0(VALU_DEP_2) | instskip(NEXT) | instid1(VALU_DEP_1)
	v_cmp_eq_u32_e64 s1, 0, v2
	v_cndmask_b32_e64 v2, v3, v5, s1
; %bb.148:
	s_or_b32 exec_lo, exec_lo, s3
	s_waitcnt lgkmcnt(0)
	v_and_b32_e32 v3, 0x7f800000, v1
                                        ; implicit-def: $vgpr5
	s_delay_alu instid0(VALU_DEP_1) | instskip(NEXT) | instid1(VALU_DEP_1)
	v_cmp_ne_u32_e64 s1, 0x7f800000, v3
	s_and_saveexec_b32 s3, s1
	s_delay_alu instid0(SALU_CYCLE_1)
	s_xor_b32 s1, exec_lo, s3
; %bb.149:
	v_bfe_u32 v3, v1, 16, 1
	s_delay_alu instid0(VALU_DEP_1)
	v_add3_u32 v5, v1, v3, 0x7fff
                                        ; implicit-def: $vgpr1
; %bb.150:
	s_and_not1_saveexec_b32 s3, s1
; %bb.151:
	v_and_b32_e32 v3, 0xffff, v1
	v_or_b32_e32 v4, 0x10000, v1
	s_delay_alu instid0(VALU_DEP_2) | instskip(NEXT) | instid1(VALU_DEP_1)
	v_cmp_eq_u32_e64 s1, 0, v3
	v_cndmask_b32_e64 v5, v4, v1, s1
; %bb.152:
	s_or_b32 exec_lo, exec_lo, s3
	v_mul_lo_u32 v0, v0, s29
	v_and_b32_e32 v4, 0xffff0000, v2
	s_delay_alu instid0(VALU_DEP_3) | instskip(SKIP_1) | instid1(VALU_DEP_3)
	v_and_b32_e32 v5, 0xffff0000, v5
	s_mov_b32 s3, 0
	v_ashrrev_i32_e32 v1, 31, v0
	s_delay_alu instid0(VALU_DEP_1) | instskip(NEXT) | instid1(VALU_DEP_1)
	v_lshlrev_b64 v[0:1], 1, v[0:1]
	v_add_co_u32 v0, s1, v11, v0
	s_delay_alu instid0(VALU_DEP_1)
	v_add_co_ci_u32_e64 v1, s1, v12, v1, s1
	global_load_b32 v3, v[0:1], off
	s_branch .LBB7_154
.LBB7_153:                              ;   in Loop: Header=BB7_154 Depth=1
	s_or_b32 exec_lo, exec_lo, s4
	v_lshrrev_b32_e32 v2, 16, v2
	s_delay_alu instid0(VALU_DEP_1) | instskip(SKIP_4) | instid1(VALU_DEP_2)
	v_and_or_b32 v2, 0xffff0000, v10, v2
	global_atomic_cmpswap_b32 v2, v[0:1], v[2:3], off glc
	s_waitcnt vmcnt(0)
	v_cmp_eq_u32_e64 s1, v2, v3
	v_mov_b32_e32 v3, v2
	s_or_b32 s3, s1, s3
	s_delay_alu instid0(SALU_CYCLE_1)
	s_and_not1_b32 exec_lo, exec_lo, s3
	s_cbranch_execz .LBB7_162
.LBB7_154:                              ; =>This Inner Loop Header: Depth=1
	s_waitcnt vmcnt(0)
	v_lshlrev_b32_e32 v2, 16, v3
	s_delay_alu instid0(VALU_DEP_1) | instskip(NEXT) | instid1(VALU_DEP_1)
	v_add_f32_e32 v9, v4, v2
	v_and_b32_e32 v2, 0x7f800000, v9
	s_delay_alu instid0(VALU_DEP_1) | instskip(NEXT) | instid1(VALU_DEP_1)
	v_cmp_ne_u32_e64 s1, 0x7f800000, v2
                                        ; implicit-def: $vgpr2
	s_and_saveexec_b32 s4, s1
	s_delay_alu instid0(SALU_CYCLE_1)
	s_xor_b32 s1, exec_lo, s4
; %bb.155:                              ;   in Loop: Header=BB7_154 Depth=1
	v_bfe_u32 v2, v9, 16, 1
	s_delay_alu instid0(VALU_DEP_1)
	v_add3_u32 v2, v9, v2, 0x7fff
                                        ; implicit-def: $vgpr9
; %bb.156:                              ;   in Loop: Header=BB7_154 Depth=1
	s_and_not1_saveexec_b32 s4, s1
; %bb.157:                              ;   in Loop: Header=BB7_154 Depth=1
	v_and_b32_e32 v2, 0xffff, v9
	v_or_b32_e32 v10, 0x10000, v9
	s_delay_alu instid0(VALU_DEP_2) | instskip(NEXT) | instid1(VALU_DEP_1)
	v_cmp_eq_u32_e64 s1, 0, v2
	v_cndmask_b32_e64 v2, v10, v9, s1
; %bb.158:                              ;   in Loop: Header=BB7_154 Depth=1
	s_or_b32 exec_lo, exec_lo, s4
	v_and_b32_e32 v9, 0xffff0000, v3
	s_delay_alu instid0(VALU_DEP_1) | instskip(NEXT) | instid1(VALU_DEP_1)
	v_add_f32_e32 v9, v5, v9
	v_and_b32_e32 v10, 0x7f800000, v9
	s_delay_alu instid0(VALU_DEP_1) | instskip(NEXT) | instid1(VALU_DEP_1)
	v_cmp_ne_u32_e64 s1, 0x7f800000, v10
                                        ; implicit-def: $vgpr10
	s_and_saveexec_b32 s4, s1
	s_delay_alu instid0(SALU_CYCLE_1)
	s_xor_b32 s1, exec_lo, s4
; %bb.159:                              ;   in Loop: Header=BB7_154 Depth=1
	v_bfe_u32 v10, v9, 16, 1
	s_delay_alu instid0(VALU_DEP_1)
	v_add3_u32 v10, v9, v10, 0x7fff
                                        ; implicit-def: $vgpr9
; %bb.160:                              ;   in Loop: Header=BB7_154 Depth=1
	s_and_not1_saveexec_b32 s4, s1
	s_cbranch_execz .LBB7_153
; %bb.161:                              ;   in Loop: Header=BB7_154 Depth=1
	v_and_b32_e32 v10, 0xffff, v9
	v_or_b32_e32 v15, 0x10000, v9
	s_delay_alu instid0(VALU_DEP_2) | instskip(NEXT) | instid1(VALU_DEP_1)
	v_cmp_eq_u32_e64 s1, 0, v10
	v_cndmask_b32_e64 v10, v15, v9, s1
	s_branch .LBB7_153
.LBB7_162:
	s_or_b32 exec_lo, exec_lo, s2
	s_waitcnt lgkmcnt(0)
	ds_bpermute_b32 v1, v13, v6
	s_and_saveexec_b32 s2, s0
	s_cbranch_execz .LBB7_182
; %bb.163:
	v_add_nc_u32_e32 v0, 10, v14
	s_delay_alu instid0(VALU_DEP_1) | instskip(NEXT) | instid1(VALU_DEP_1)
	v_cmp_gt_i32_e64 s1, s28, v0
	s_and_b32 s1, s1, vcc_lo
	s_delay_alu instid0(SALU_CYCLE_1)
	s_and_b32 exec_lo, exec_lo, s1
	s_cbranch_execz .LBB7_182
; %bb.164:
	v_and_b32_e32 v2, 0x7f800000, v6
	s_delay_alu instid0(VALU_DEP_1) | instskip(NEXT) | instid1(VALU_DEP_1)
	v_cmp_ne_u32_e64 s1, 0x7f800000, v2
                                        ; implicit-def: $vgpr2
	s_and_saveexec_b32 s3, s1
	s_delay_alu instid0(SALU_CYCLE_1)
	s_xor_b32 s1, exec_lo, s3
; %bb.165:
	v_bfe_u32 v2, v6, 16, 1
	s_delay_alu instid0(VALU_DEP_1)
	v_add3_u32 v2, v6, v2, 0x7fff
; %bb.166:
	s_and_not1_saveexec_b32 s3, s1
; %bb.167:
	v_and_b32_e32 v2, 0xffff, v6
	v_or_b32_e32 v3, 0x10000, v6
	s_delay_alu instid0(VALU_DEP_2) | instskip(NEXT) | instid1(VALU_DEP_1)
	v_cmp_eq_u32_e64 s1, 0, v2
	v_cndmask_b32_e64 v2, v3, v6, s1
; %bb.168:
	s_or_b32 exec_lo, exec_lo, s3
	s_waitcnt lgkmcnt(0)
	v_and_b32_e32 v3, 0x7f800000, v1
                                        ; implicit-def: $vgpr5
	s_delay_alu instid0(VALU_DEP_1) | instskip(NEXT) | instid1(VALU_DEP_1)
	v_cmp_ne_u32_e64 s1, 0x7f800000, v3
	s_and_saveexec_b32 s3, s1
	s_delay_alu instid0(SALU_CYCLE_1)
	s_xor_b32 s1, exec_lo, s3
; %bb.169:
	v_bfe_u32 v3, v1, 16, 1
	s_delay_alu instid0(VALU_DEP_1)
	v_add3_u32 v5, v1, v3, 0x7fff
                                        ; implicit-def: $vgpr1
; %bb.170:
	s_and_not1_saveexec_b32 s3, s1
; %bb.171:
	v_and_b32_e32 v3, 0xffff, v1
	v_or_b32_e32 v4, 0x10000, v1
	s_delay_alu instid0(VALU_DEP_2) | instskip(NEXT) | instid1(VALU_DEP_1)
	v_cmp_eq_u32_e64 s1, 0, v3
	v_cndmask_b32_e64 v5, v4, v1, s1
; %bb.172:
	s_or_b32 exec_lo, exec_lo, s3
	v_mul_lo_u32 v0, v0, s29
	v_and_b32_e32 v4, 0xffff0000, v2
	s_delay_alu instid0(VALU_DEP_3) | instskip(SKIP_1) | instid1(VALU_DEP_3)
	v_and_b32_e32 v5, 0xffff0000, v5
	s_mov_b32 s3, 0
	v_ashrrev_i32_e32 v1, 31, v0
	s_delay_alu instid0(VALU_DEP_1) | instskip(NEXT) | instid1(VALU_DEP_1)
	v_lshlrev_b64 v[0:1], 1, v[0:1]
	v_add_co_u32 v0, s1, v11, v0
	s_delay_alu instid0(VALU_DEP_1)
	v_add_co_ci_u32_e64 v1, s1, v12, v1, s1
	global_load_b32 v3, v[0:1], off
	s_branch .LBB7_174
.LBB7_173:                              ;   in Loop: Header=BB7_174 Depth=1
	s_or_b32 exec_lo, exec_lo, s4
	v_lshrrev_b32_e32 v2, 16, v2
	s_delay_alu instid0(VALU_DEP_1) | instskip(SKIP_4) | instid1(VALU_DEP_2)
	v_and_or_b32 v2, 0xffff0000, v9, v2
	global_atomic_cmpswap_b32 v2, v[0:1], v[2:3], off glc
	s_waitcnt vmcnt(0)
	v_cmp_eq_u32_e64 s1, v2, v3
	v_mov_b32_e32 v3, v2
	s_or_b32 s3, s1, s3
	s_delay_alu instid0(SALU_CYCLE_1)
	s_and_not1_b32 exec_lo, exec_lo, s3
	s_cbranch_execz .LBB7_182
.LBB7_174:                              ; =>This Inner Loop Header: Depth=1
	s_waitcnt vmcnt(0)
	v_lshlrev_b32_e32 v2, 16, v3
	s_delay_alu instid0(VALU_DEP_1) | instskip(NEXT) | instid1(VALU_DEP_1)
	v_add_f32_e32 v6, v4, v2
	v_and_b32_e32 v2, 0x7f800000, v6
	s_delay_alu instid0(VALU_DEP_1) | instskip(NEXT) | instid1(VALU_DEP_1)
	v_cmp_ne_u32_e64 s1, 0x7f800000, v2
                                        ; implicit-def: $vgpr2
	s_and_saveexec_b32 s4, s1
	s_delay_alu instid0(SALU_CYCLE_1)
	s_xor_b32 s1, exec_lo, s4
; %bb.175:                              ;   in Loop: Header=BB7_174 Depth=1
	v_bfe_u32 v2, v6, 16, 1
	s_delay_alu instid0(VALU_DEP_1)
	v_add3_u32 v2, v6, v2, 0x7fff
                                        ; implicit-def: $vgpr6
; %bb.176:                              ;   in Loop: Header=BB7_174 Depth=1
	s_and_not1_saveexec_b32 s4, s1
; %bb.177:                              ;   in Loop: Header=BB7_174 Depth=1
	v_and_b32_e32 v2, 0xffff, v6
	v_or_b32_e32 v9, 0x10000, v6
	s_delay_alu instid0(VALU_DEP_2) | instskip(NEXT) | instid1(VALU_DEP_1)
	v_cmp_eq_u32_e64 s1, 0, v2
	v_cndmask_b32_e64 v2, v9, v6, s1
; %bb.178:                              ;   in Loop: Header=BB7_174 Depth=1
	s_or_b32 exec_lo, exec_lo, s4
	v_and_b32_e32 v6, 0xffff0000, v3
	s_delay_alu instid0(VALU_DEP_1) | instskip(NEXT) | instid1(VALU_DEP_1)
	v_add_f32_e32 v6, v5, v6
	v_and_b32_e32 v9, 0x7f800000, v6
	s_delay_alu instid0(VALU_DEP_1) | instskip(NEXT) | instid1(VALU_DEP_1)
	v_cmp_ne_u32_e64 s1, 0x7f800000, v9
                                        ; implicit-def: $vgpr9
	s_and_saveexec_b32 s4, s1
	s_delay_alu instid0(SALU_CYCLE_1)
	s_xor_b32 s1, exec_lo, s4
; %bb.179:                              ;   in Loop: Header=BB7_174 Depth=1
	v_bfe_u32 v9, v6, 16, 1
	s_delay_alu instid0(VALU_DEP_1)
	v_add3_u32 v9, v6, v9, 0x7fff
                                        ; implicit-def: $vgpr6
; %bb.180:                              ;   in Loop: Header=BB7_174 Depth=1
	s_and_not1_saveexec_b32 s4, s1
	s_cbranch_execz .LBB7_173
; %bb.181:                              ;   in Loop: Header=BB7_174 Depth=1
	v_and_b32_e32 v9, 0xffff, v6
	v_or_b32_e32 v10, 0x10000, v6
	s_delay_alu instid0(VALU_DEP_2) | instskip(NEXT) | instid1(VALU_DEP_1)
	v_cmp_eq_u32_e64 s1, 0, v9
	v_cndmask_b32_e64 v9, v10, v6, s1
	s_branch .LBB7_173
.LBB7_182:
	s_or_b32 exec_lo, exec_lo, s2
	s_waitcnt lgkmcnt(0)
	ds_bpermute_b32 v1, v13, v7
	s_and_saveexec_b32 s2, s0
	s_cbranch_execz .LBB7_202
; %bb.183:
	v_add_nc_u32_e32 v0, 12, v14
	s_delay_alu instid0(VALU_DEP_1) | instskip(NEXT) | instid1(VALU_DEP_1)
	v_cmp_gt_i32_e64 s1, s28, v0
	s_and_b32 s1, s1, vcc_lo
	s_delay_alu instid0(SALU_CYCLE_1)
	s_and_b32 exec_lo, exec_lo, s1
	s_cbranch_execz .LBB7_202
; %bb.184:
	v_and_b32_e32 v2, 0x7f800000, v7
	s_delay_alu instid0(VALU_DEP_1) | instskip(NEXT) | instid1(VALU_DEP_1)
	v_cmp_ne_u32_e64 s1, 0x7f800000, v2
                                        ; implicit-def: $vgpr2
	s_and_saveexec_b32 s3, s1
	s_delay_alu instid0(SALU_CYCLE_1)
	s_xor_b32 s1, exec_lo, s3
; %bb.185:
	v_bfe_u32 v2, v7, 16, 1
	s_delay_alu instid0(VALU_DEP_1)
	v_add3_u32 v2, v7, v2, 0x7fff
; %bb.186:
	s_and_not1_saveexec_b32 s3, s1
; %bb.187:
	v_and_b32_e32 v2, 0xffff, v7
	v_or_b32_e32 v3, 0x10000, v7
	s_delay_alu instid0(VALU_DEP_2) | instskip(NEXT) | instid1(VALU_DEP_1)
	v_cmp_eq_u32_e64 s1, 0, v2
	v_cndmask_b32_e64 v2, v3, v7, s1
; %bb.188:
	s_or_b32 exec_lo, exec_lo, s3
	s_waitcnt lgkmcnt(0)
	v_and_b32_e32 v3, 0x7f800000, v1
                                        ; implicit-def: $vgpr5
	s_delay_alu instid0(VALU_DEP_1) | instskip(NEXT) | instid1(VALU_DEP_1)
	v_cmp_ne_u32_e64 s1, 0x7f800000, v3
	s_and_saveexec_b32 s3, s1
	s_delay_alu instid0(SALU_CYCLE_1)
	s_xor_b32 s1, exec_lo, s3
; %bb.189:
	v_bfe_u32 v3, v1, 16, 1
	s_delay_alu instid0(VALU_DEP_1)
	v_add3_u32 v5, v1, v3, 0x7fff
                                        ; implicit-def: $vgpr1
; %bb.190:
	s_and_not1_saveexec_b32 s3, s1
; %bb.191:
	v_and_b32_e32 v3, 0xffff, v1
	v_or_b32_e32 v4, 0x10000, v1
	s_delay_alu instid0(VALU_DEP_2) | instskip(NEXT) | instid1(VALU_DEP_1)
	v_cmp_eq_u32_e64 s1, 0, v3
	v_cndmask_b32_e64 v5, v4, v1, s1
; %bb.192:
	s_or_b32 exec_lo, exec_lo, s3
	v_mul_lo_u32 v0, v0, s29
	v_and_b32_e32 v4, 0xffff0000, v2
	s_delay_alu instid0(VALU_DEP_3) | instskip(SKIP_1) | instid1(VALU_DEP_3)
	v_and_b32_e32 v5, 0xffff0000, v5
	s_mov_b32 s3, 0
	v_ashrrev_i32_e32 v1, 31, v0
	s_delay_alu instid0(VALU_DEP_1) | instskip(NEXT) | instid1(VALU_DEP_1)
	v_lshlrev_b64 v[0:1], 1, v[0:1]
	v_add_co_u32 v0, s1, v11, v0
	s_delay_alu instid0(VALU_DEP_1)
	v_add_co_ci_u32_e64 v1, s1, v12, v1, s1
	global_load_b32 v3, v[0:1], off
	s_branch .LBB7_194
.LBB7_193:                              ;   in Loop: Header=BB7_194 Depth=1
	s_or_b32 exec_lo, exec_lo, s4
	v_lshrrev_b32_e32 v2, 16, v2
	s_delay_alu instid0(VALU_DEP_1) | instskip(SKIP_4) | instid1(VALU_DEP_2)
	v_and_or_b32 v2, 0xffff0000, v7, v2
	global_atomic_cmpswap_b32 v2, v[0:1], v[2:3], off glc
	s_waitcnt vmcnt(0)
	v_cmp_eq_u32_e64 s1, v2, v3
	v_mov_b32_e32 v3, v2
	s_or_b32 s3, s1, s3
	s_delay_alu instid0(SALU_CYCLE_1)
	s_and_not1_b32 exec_lo, exec_lo, s3
	s_cbranch_execz .LBB7_202
.LBB7_194:                              ; =>This Inner Loop Header: Depth=1
	s_waitcnt vmcnt(0)
	v_lshlrev_b32_e32 v2, 16, v3
	s_delay_alu instid0(VALU_DEP_1) | instskip(NEXT) | instid1(VALU_DEP_1)
	v_add_f32_e32 v6, v4, v2
	v_and_b32_e32 v2, 0x7f800000, v6
	s_delay_alu instid0(VALU_DEP_1) | instskip(NEXT) | instid1(VALU_DEP_1)
	v_cmp_ne_u32_e64 s1, 0x7f800000, v2
                                        ; implicit-def: $vgpr2
	s_and_saveexec_b32 s4, s1
	s_delay_alu instid0(SALU_CYCLE_1)
	s_xor_b32 s1, exec_lo, s4
; %bb.195:                              ;   in Loop: Header=BB7_194 Depth=1
	v_bfe_u32 v2, v6, 16, 1
	s_delay_alu instid0(VALU_DEP_1)
	v_add3_u32 v2, v6, v2, 0x7fff
                                        ; implicit-def: $vgpr6
; %bb.196:                              ;   in Loop: Header=BB7_194 Depth=1
	s_and_not1_saveexec_b32 s4, s1
; %bb.197:                              ;   in Loop: Header=BB7_194 Depth=1
	v_and_b32_e32 v2, 0xffff, v6
	v_or_b32_e32 v7, 0x10000, v6
	s_delay_alu instid0(VALU_DEP_2) | instskip(NEXT) | instid1(VALU_DEP_1)
	v_cmp_eq_u32_e64 s1, 0, v2
	v_cndmask_b32_e64 v2, v7, v6, s1
; %bb.198:                              ;   in Loop: Header=BB7_194 Depth=1
	s_or_b32 exec_lo, exec_lo, s4
	v_and_b32_e32 v6, 0xffff0000, v3
	s_delay_alu instid0(VALU_DEP_1) | instskip(NEXT) | instid1(VALU_DEP_1)
	v_add_f32_e32 v6, v5, v6
	v_and_b32_e32 v7, 0x7f800000, v6
	s_delay_alu instid0(VALU_DEP_1) | instskip(NEXT) | instid1(VALU_DEP_1)
	v_cmp_ne_u32_e64 s1, 0x7f800000, v7
                                        ; implicit-def: $vgpr7
	s_and_saveexec_b32 s4, s1
	s_delay_alu instid0(SALU_CYCLE_1)
	s_xor_b32 s1, exec_lo, s4
; %bb.199:                              ;   in Loop: Header=BB7_194 Depth=1
	v_bfe_u32 v7, v6, 16, 1
	s_delay_alu instid0(VALU_DEP_1)
	v_add3_u32 v7, v6, v7, 0x7fff
                                        ; implicit-def: $vgpr6
; %bb.200:                              ;   in Loop: Header=BB7_194 Depth=1
	s_and_not1_saveexec_b32 s4, s1
	s_cbranch_execz .LBB7_193
; %bb.201:                              ;   in Loop: Header=BB7_194 Depth=1
	v_and_b32_e32 v7, 0xffff, v6
	v_or_b32_e32 v9, 0x10000, v6
	s_delay_alu instid0(VALU_DEP_2) | instskip(NEXT) | instid1(VALU_DEP_1)
	v_cmp_eq_u32_e64 s1, 0, v7
	v_cndmask_b32_e64 v7, v9, v6, s1
	s_branch .LBB7_193
.LBB7_202:
	s_or_b32 exec_lo, exec_lo, s2
	ds_bpermute_b32 v9, v13, v8
	s_and_saveexec_b32 s1, s0
	s_cbranch_execz .LBB7_222
; %bb.203:
	v_add_nc_u32_e32 v0, 14, v14
	s_delay_alu instid0(VALU_DEP_1) | instskip(NEXT) | instid1(VALU_DEP_1)
	v_cmp_gt_i32_e64 s0, s28, v0
	s_and_b32 s0, s0, vcc_lo
	s_delay_alu instid0(SALU_CYCLE_1)
	s_and_b32 exec_lo, exec_lo, s0
	s_cbranch_execz .LBB7_222
; %bb.204:
	s_waitcnt lgkmcnt(1)
	v_and_b32_e32 v1, 0x7f800000, v8
	s_mov_b32 s0, exec_lo
                                        ; implicit-def: $vgpr10
	s_delay_alu instid0(VALU_DEP_1)
	v_cmpx_ne_u32_e32 0x7f800000, v1
	s_xor_b32 s0, exec_lo, s0
; %bb.205:
	v_bfe_u32 v1, v8, 16, 1
	s_delay_alu instid0(VALU_DEP_1)
	v_add3_u32 v10, v8, v1, 0x7fff
                                        ; implicit-def: $vgpr1_vgpr2_vgpr3_vgpr4_vgpr5_vgpr6_vgpr7_vgpr8
; %bb.206:
	s_and_not1_saveexec_b32 s0, s0
; %bb.207:
	v_and_b32_e32 v1, 0xffff, v8
	v_or_b32_e32 v2, 0x10000, v8
	s_delay_alu instid0(VALU_DEP_2) | instskip(NEXT) | instid1(VALU_DEP_2)
	v_cmp_eq_u32_e32 vcc_lo, 0, v1
	v_cndmask_b32_e32 v10, v2, v8, vcc_lo
; %bb.208:
	s_or_b32 exec_lo, exec_lo, s0
	s_waitcnt lgkmcnt(0)
	v_and_b32_e32 v1, 0x7f800000, v9
	s_mov_b32 s0, exec_lo
                                        ; implicit-def: $vgpr2
	s_delay_alu instid0(VALU_DEP_1)
	v_cmpx_ne_u32_e32 0x7f800000, v1
	s_xor_b32 s0, exec_lo, s0
; %bb.209:
	v_bfe_u32 v1, v9, 16, 1
	s_delay_alu instid0(VALU_DEP_1)
	v_add3_u32 v2, v9, v1, 0x7fff
                                        ; implicit-def: $vgpr9
; %bb.210:
	s_and_not1_saveexec_b32 s0, s0
; %bb.211:
	v_and_b32_e32 v1, 0xffff, v9
	v_or_b32_e32 v2, 0x10000, v9
	s_delay_alu instid0(VALU_DEP_2) | instskip(NEXT) | instid1(VALU_DEP_2)
	v_cmp_eq_u32_e32 vcc_lo, 0, v1
	v_cndmask_b32_e32 v2, v2, v9, vcc_lo
; %bb.212:
	s_or_b32 exec_lo, exec_lo, s0
	v_mul_lo_u32 v0, v0, s29
	v_and_b32_e32 v4, 0xffff0000, v10
	s_delay_alu instid0(VALU_DEP_3) | instskip(SKIP_1) | instid1(VALU_DEP_3)
	v_and_b32_e32 v5, 0xffff0000, v2
	s_mov_b32 s0, 0
	v_ashrrev_i32_e32 v1, 31, v0
	s_delay_alu instid0(VALU_DEP_1) | instskip(NEXT) | instid1(VALU_DEP_1)
	v_lshlrev_b64 v[0:1], 1, v[0:1]
	v_add_co_u32 v0, vcc_lo, v11, v0
	s_delay_alu instid0(VALU_DEP_2)
	v_add_co_ci_u32_e32 v1, vcc_lo, v12, v1, vcc_lo
	global_load_b32 v3, v[0:1], off
	s_branch .LBB7_214
.LBB7_213:                              ;   in Loop: Header=BB7_214 Depth=1
	s_or_b32 exec_lo, exec_lo, s1
	v_lshrrev_b32_e32 v2, 16, v2
	s_delay_alu instid0(VALU_DEP_1)
	v_and_or_b32 v2, 0xffff0000, v7, v2
	global_atomic_cmpswap_b32 v2, v[0:1], v[2:3], off glc
	s_waitcnt vmcnt(0)
	v_cmp_eq_u32_e32 vcc_lo, v2, v3
	v_mov_b32_e32 v3, v2
	s_or_b32 s0, vcc_lo, s0
	s_delay_alu instid0(SALU_CYCLE_1)
	s_and_not1_b32 exec_lo, exec_lo, s0
	s_cbranch_execz .LBB7_222
.LBB7_214:                              ; =>This Inner Loop Header: Depth=1
	s_waitcnt vmcnt(0)
	v_lshlrev_b32_e32 v2, 16, v3
	s_delay_alu instid0(VALU_DEP_1) | instskip(NEXT) | instid1(VALU_DEP_1)
	v_add_f32_e32 v6, v4, v2
	v_and_b32_e32 v2, 0x7f800000, v6
	s_delay_alu instid0(VALU_DEP_1) | instskip(SKIP_1) | instid1(SALU_CYCLE_1)
	v_cmp_ne_u32_e32 vcc_lo, 0x7f800000, v2
                                        ; implicit-def: $vgpr2
	s_and_saveexec_b32 s1, vcc_lo
	s_xor_b32 s1, exec_lo, s1
; %bb.215:                              ;   in Loop: Header=BB7_214 Depth=1
	v_bfe_u32 v2, v6, 16, 1
	s_delay_alu instid0(VALU_DEP_1)
	v_add3_u32 v2, v6, v2, 0x7fff
                                        ; implicit-def: $vgpr6
; %bb.216:                              ;   in Loop: Header=BB7_214 Depth=1
	s_and_not1_saveexec_b32 s1, s1
; %bb.217:                              ;   in Loop: Header=BB7_214 Depth=1
	v_and_b32_e32 v2, 0xffff, v6
	v_or_b32_e32 v7, 0x10000, v6
	s_delay_alu instid0(VALU_DEP_2) | instskip(NEXT) | instid1(VALU_DEP_2)
	v_cmp_eq_u32_e32 vcc_lo, 0, v2
	v_cndmask_b32_e32 v2, v7, v6, vcc_lo
; %bb.218:                              ;   in Loop: Header=BB7_214 Depth=1
	s_or_b32 exec_lo, exec_lo, s1
	v_and_b32_e32 v6, 0xffff0000, v3
	s_delay_alu instid0(VALU_DEP_1) | instskip(NEXT) | instid1(VALU_DEP_1)
	v_add_f32_e32 v6, v5, v6
	v_and_b32_e32 v7, 0x7f800000, v6
	s_delay_alu instid0(VALU_DEP_1) | instskip(SKIP_1) | instid1(SALU_CYCLE_1)
	v_cmp_ne_u32_e32 vcc_lo, 0x7f800000, v7
                                        ; implicit-def: $vgpr7
	s_and_saveexec_b32 s1, vcc_lo
	s_xor_b32 s1, exec_lo, s1
; %bb.219:                              ;   in Loop: Header=BB7_214 Depth=1
	v_bfe_u32 v7, v6, 16, 1
	s_delay_alu instid0(VALU_DEP_1)
	v_add3_u32 v7, v6, v7, 0x7fff
                                        ; implicit-def: $vgpr6
; %bb.220:                              ;   in Loop: Header=BB7_214 Depth=1
	s_and_not1_saveexec_b32 s1, s1
	s_cbranch_execz .LBB7_213
; %bb.221:                              ;   in Loop: Header=BB7_214 Depth=1
	v_and_b32_e32 v7, 0xffff, v6
	v_or_b32_e32 v8, 0x10000, v6
	s_delay_alu instid0(VALU_DEP_2) | instskip(NEXT) | instid1(VALU_DEP_2)
	v_cmp_eq_u32_e32 vcc_lo, 0, v7
	v_cndmask_b32_e32 v7, v8, v6, vcc_lo
	s_branch .LBB7_213
.LBB7_222:
	s_nop 0
	s_sendmsg sendmsg(MSG_DEALLOC_VGPRS)
	s_endpgm
	.section	.rodata,"a",@progbits
	.p2align	6, 0x0
	.amdhsa_kernel _ZN4vllm15gptq_rdna3_wmma28gemm_q4_wmma_kernel_16x16_1wI14__hip_bfloat16EEvPKT_PKjS7_S5_PS3_iiiiiPKi
		.amdhsa_group_segment_fixed_size 512
		.amdhsa_private_segment_fixed_size 0
		.amdhsa_kernarg_size 328
		.amdhsa_user_sgpr_count 13
		.amdhsa_user_sgpr_dispatch_ptr 0
		.amdhsa_user_sgpr_queue_ptr 0
		.amdhsa_user_sgpr_kernarg_segment_ptr 1
		.amdhsa_user_sgpr_dispatch_id 0
		.amdhsa_user_sgpr_private_segment_size 0
		.amdhsa_wavefront_size32 1
		.amdhsa_uses_dynamic_stack 0
		.amdhsa_enable_private_segment 0
		.amdhsa_system_sgpr_workgroup_id_x 1
		.amdhsa_system_sgpr_workgroup_id_y 1
		.amdhsa_system_sgpr_workgroup_id_z 1
		.amdhsa_system_sgpr_workgroup_info 0
		.amdhsa_system_vgpr_workitem_id 0
		.amdhsa_next_free_vgpr 45
		.amdhsa_next_free_sgpr 50
		.amdhsa_reserve_vcc 1
		.amdhsa_float_round_mode_32 0
		.amdhsa_float_round_mode_16_64 0
		.amdhsa_float_denorm_mode_32 3
		.amdhsa_float_denorm_mode_16_64 3
		.amdhsa_dx10_clamp 1
		.amdhsa_ieee_mode 1
		.amdhsa_fp16_overflow 0
		.amdhsa_workgroup_processor_mode 1
		.amdhsa_memory_ordered 1
		.amdhsa_forward_progress 0
		.amdhsa_shared_vgpr_count 0
		.amdhsa_exception_fp_ieee_invalid_op 0
		.amdhsa_exception_fp_denorm_src 0
		.amdhsa_exception_fp_ieee_div_zero 0
		.amdhsa_exception_fp_ieee_overflow 0
		.amdhsa_exception_fp_ieee_underflow 0
		.amdhsa_exception_fp_ieee_inexact 0
		.amdhsa_exception_int_div_zero 0
	.end_amdhsa_kernel
	.section	.text._ZN4vllm15gptq_rdna3_wmma28gemm_q4_wmma_kernel_16x16_1wI14__hip_bfloat16EEvPKT_PKjS7_S5_PS3_iiiiiPKi,"axG",@progbits,_ZN4vllm15gptq_rdna3_wmma28gemm_q4_wmma_kernel_16x16_1wI14__hip_bfloat16EEvPKT_PKjS7_S5_PS3_iiiiiPKi,comdat
.Lfunc_end7:
	.size	_ZN4vllm15gptq_rdna3_wmma28gemm_q4_wmma_kernel_16x16_1wI14__hip_bfloat16EEvPKT_PKjS7_S5_PS3_iiiiiPKi, .Lfunc_end7-_ZN4vllm15gptq_rdna3_wmma28gemm_q4_wmma_kernel_16x16_1wI14__hip_bfloat16EEvPKT_PKjS7_S5_PS3_iiiiiPKi
                                        ; -- End function
	.section	.AMDGPU.csdata,"",@progbits
; Kernel info:
; codeLenInByte = 9056
; NumSgprs: 52
; NumVgprs: 45
; ScratchSize: 0
; MemoryBound: 1
; FloatMode: 240
; IeeeMode: 1
; LDSByteSize: 512 bytes/workgroup (compile time only)
; SGPRBlocks: 6
; VGPRBlocks: 5
; NumSGPRsForWavesPerEU: 52
; NumVGPRsForWavesPerEU: 45
; Occupancy: 16
; WaveLimiterHint : 1
; COMPUTE_PGM_RSRC2:SCRATCH_EN: 0
; COMPUTE_PGM_RSRC2:USER_SGPR: 13
; COMPUTE_PGM_RSRC2:TRAP_HANDLER: 0
; COMPUTE_PGM_RSRC2:TGID_X_EN: 1
; COMPUTE_PGM_RSRC2:TGID_Y_EN: 1
; COMPUTE_PGM_RSRC2:TGID_Z_EN: 1
; COMPUTE_PGM_RSRC2:TIDIG_COMP_CNT: 0
	.section	.text._ZN4vllm15gptq_rdna3_wmma28gemm_q4_wmma_kernel_32x16_2wI14__hip_bfloat16EEvPKT_PKjS7_S5_PS3_iiiiiPKi,"axG",@progbits,_ZN4vllm15gptq_rdna3_wmma28gemm_q4_wmma_kernel_32x16_2wI14__hip_bfloat16EEvPKT_PKjS7_S5_PS3_iiiiiPKi,comdat
	.protected	_ZN4vllm15gptq_rdna3_wmma28gemm_q4_wmma_kernel_32x16_2wI14__hip_bfloat16EEvPKT_PKjS7_S5_PS3_iiiiiPKi ; -- Begin function _ZN4vllm15gptq_rdna3_wmma28gemm_q4_wmma_kernel_32x16_2wI14__hip_bfloat16EEvPKT_PKjS7_S5_PS3_iiiiiPKi
	.globl	_ZN4vllm15gptq_rdna3_wmma28gemm_q4_wmma_kernel_32x16_2wI14__hip_bfloat16EEvPKT_PKjS7_S5_PS3_iiiiiPKi
	.p2align	8
	.type	_ZN4vllm15gptq_rdna3_wmma28gemm_q4_wmma_kernel_32x16_2wI14__hip_bfloat16EEvPKT_PKjS7_S5_PS3_iiiiiPKi,@function
_ZN4vllm15gptq_rdna3_wmma28gemm_q4_wmma_kernel_32x16_2wI14__hip_bfloat16EEvPKT_PKjS7_S5_PS3_iiiiiPKi: ; @_ZN4vllm15gptq_rdna3_wmma28gemm_q4_wmma_kernel_32x16_2wI14__hip_bfloat16EEvPKT_PKjS7_S5_PS3_iiiiiPKi
; %bb.0:
	s_load_b128 s[20:23], s[0:1], 0x28
	s_lshl_b32 s6, s14, 5
	s_lshl_b32 s10, s13, 4
	s_waitcnt lgkmcnt(0)
	s_cmp_ge_i32 s6, s20
	s_cselect_b32 s2, -1, 0
	s_cmp_ge_i32 s10, s21
	s_cselect_b32 s3, -1, 0
	s_delay_alu instid0(SALU_CYCLE_1) | instskip(NEXT) | instid1(SALU_CYCLE_1)
	s_or_b32 s2, s2, s3
	s_and_b32 vcc_lo, exec_lo, s2
	s_cbranch_vccnz .LBB8_231
; %bb.1:
	s_abs_i32 s2, s23
	s_clause 0x1
	s_load_b32 s3, s[0:1], 0x50
	s_load_b32 s33, s[0:1], 0x38
	v_cvt_f32_u32_e32 v1, s2
	s_sub_i32 s5, 0, s2
	s_abs_i32 s7, s22
	s_clause 0x1
	s_load_b128 s[24:27], s[0:1], 0x8
	s_load_b64 s[30:31], s[0:1], 0x18
	v_lshrrev_b32_e32 v9, 4, v0
	v_rcp_iflag_f32_e32 v1, v1
	v_bfe_u32 v21, v0, 4, 1
	v_and_b32_e32 v22, 15, v0
	s_delay_alu instid0(VALU_DEP_1) | instskip(SKIP_4) | instid1(VALU_DEP_2)
	v_or_b32_e32 v17, s10, v22
	s_waitcnt_depctr 0xfff
	v_mul_f32_e32 v1, 0x4f7ffffe, v1
	s_waitcnt lgkmcnt(0)
	v_cvt_f32_u32_e32 v2, s3
	v_cvt_u32_f32_e32 v1, v1
	s_delay_alu instid0(VALU_DEP_1) | instskip(NEXT) | instid1(VALU_DEP_3)
	v_readfirstlane_b32 s4, v1
	v_rcp_iflag_f32_e32 v1, v2
	s_delay_alu instid0(VALU_DEP_1) | instskip(NEXT) | instid1(SALU_CYCLE_1)
	s_mul_i32 s5, s5, s4
	s_mul_hi_u32 s5, s4, s5
	s_delay_alu instid0(SALU_CYCLE_1)
	s_add_i32 s4, s4, s5
	s_xor_b32 s5, s22, s23
	s_mul_hi_u32 s4, s7, s4
	s_waitcnt_depctr 0xfff
	v_mul_f32_e32 v1, 0x4f7ffffe, v1
	s_mul_i32 s8, s4, s2
	s_ashr_i32 s5, s5, 31
	s_sub_i32 s7, s7, s8
	s_add_i32 s8, s4, 1
	s_sub_i32 s9, s7, s2
	s_cmp_ge_u32 s7, s2
	v_cvt_u32_f32_e32 v1, v1
	s_cselect_b32 s4, s8, s4
	s_cselect_b32 s7, s9, s7
	s_add_i32 s8, s4, 1
	s_cmp_ge_u32 s7, s2
	v_readfirstlane_b32 s2, v1
	s_cselect_b32 s4, s8, s4
	s_sub_i32 s7, 0, s3
	s_delay_alu instid0(VALU_DEP_1) | instid1(SALU_CYCLE_1)
	s_mul_i32 s7, s7, s2
	s_delay_alu instid0(SALU_CYCLE_1) | instskip(NEXT) | instid1(SALU_CYCLE_1)
	s_mul_hi_u32 s7, s2, s7
	s_add_i32 s2, s2, s7
	s_delay_alu instid0(SALU_CYCLE_1)
	s_mul_hi_u32 s7, s22, s2
	s_xor_b32 s2, s4, s5
	s_mul_i32 s4, s7, s3
	s_sub_i32 s5, s2, s5
	s_sub_i32 s4, s22, s4
	s_add_i32 s8, s7, 1
	s_sub_i32 s9, s4, s3
	s_cmp_ge_u32 s4, s3
	v_cmp_lt_u32_e64 s2, 31, v0
	s_cselect_b32 s7, s8, s7
	s_cselect_b32 s4, s9, s4
	s_add_i32 s8, s7, 1
	s_cmp_ge_u32 s4, s3
	s_cselect_b32 s11, s8, s7
	s_mov_b32 s7, exec_lo
	s_mul_i32 s4, s11, s15
	v_cmpx_gt_u32_e32 32, v0
	s_cbranch_execz .LBB8_4
; %bb.2:
	v_cmp_gt_i32_e32 vcc_lo, s21, v17
	s_and_b32 exec_lo, exec_lo, vcc_lo
	s_cbranch_execz .LBB8_4
; %bb.3:
	s_abs_i32 s8, s5
	s_abs_i32 s14, s4
	v_cvt_f32_u32_e32 v1, s8
	s_sub_i32 s15, 0, s8
	s_ashr_i32 s9, s4, 31
	s_xor_b32 s13, s4, s5
	s_lshr_b32 s9, s9, 29
	v_rcp_iflag_f32_e32 v1, v1
	s_add_i32 s9, s4, s9
	s_ashr_i32 s13, s13, 31
	s_ashr_i32 s9, s9, 3
	s_delay_alu instid0(SALU_CYCLE_1) | instskip(NEXT) | instid1(VALU_DEP_1)
	v_add_nc_u32_e32 v6, s9, v21
	v_mad_u64_u32 v[4:5], null, v6, s21, v[17:18]
	s_waitcnt_depctr 0xfff
	v_mul_f32_e32 v1, 0x4f7ffffe, v1
	s_delay_alu instid0(VALU_DEP_1) | instskip(SKIP_1) | instid1(VALU_DEP_2)
	v_cvt_u32_f32_e32 v1, v1
	v_ashrrev_i32_e32 v5, 31, v4
	v_readfirstlane_b32 s12, v1
	v_ashrrev_i32_e32 v1, 31, v17
	s_delay_alu instid0(VALU_DEP_2) | instskip(NEXT) | instid1(VALU_DEP_1)
	s_mul_i32 s15, s15, s12
	v_lshrrev_b32_e32 v1, 29, v1
	s_mul_hi_u32 s15, s12, s15
	s_delay_alu instid0(SALU_CYCLE_1) | instskip(NEXT) | instid1(SALU_CYCLE_1)
	s_add_i32 s12, s12, s15
	s_mul_hi_u32 s12, s14, s12
	s_delay_alu instid0(VALU_DEP_1) | instskip(SKIP_1) | instid1(SALU_CYCLE_1)
	v_add_nc_u32_e32 v1, v17, v1
	s_mul_i32 s15, s12, s8
	s_sub_i32 s14, s14, s15
	s_add_i32 s15, s12, 1
	s_sub_i32 s16, s14, s8
	s_cmp_ge_u32 s14, s8
	v_ashrrev_i32_e32 v1, 3, v1
	s_cselect_b32 s12, s15, s12
	s_cselect_b32 s14, s16, s14
	s_add_i32 s15, s12, 1
	s_cmp_ge_u32 s14, s8
	s_cselect_b32 s8, s15, s12
	s_ashr_i32 s9, s21, 31
	s_xor_b32 s8, s8, s13
	s_lshr_b32 s9, s9, 29
	s_sub_i32 s8, s8, s13
	s_add_i32 s9, s21, s9
	v_mad_u64_u32 v[6:7], null, s8, s21, v[17:18]
	s_ashr_i32 s9, s9, 3
	s_delay_alu instid0(SALU_CYCLE_1) | instskip(SKIP_1) | instid1(VALU_DEP_2)
	v_mad_u64_u32 v[2:3], null, s8, s9, v[1:2]
	s_mov_b32 s8, 0xf000f
	v_ashrrev_i32_e32 v7, 31, v6
	s_delay_alu instid0(VALU_DEP_2) | instskip(NEXT) | instid1(VALU_DEP_1)
	v_ashrrev_i32_e32 v3, 31, v2
	v_lshlrev_b64 v[1:2], 2, v[2:3]
	v_lshlrev_b64 v[3:4], 2, v[4:5]
	s_delay_alu instid0(VALU_DEP_2) | instskip(NEXT) | instid1(VALU_DEP_3)
	v_add_co_u32 v1, vcc_lo, s26, v1
	v_add_co_ci_u32_e32 v2, vcc_lo, s27, v2, vcc_lo
	s_delay_alu instid0(VALU_DEP_3) | instskip(NEXT) | instid1(VALU_DEP_4)
	v_add_co_u32 v3, vcc_lo, s24, v3
	v_add_co_ci_u32_e32 v4, vcc_lo, s25, v4, vcc_lo
	global_load_b32 v5, v[1:2], off
	v_lshlrev_b64 v[1:2], 1, v[6:7]
	global_load_b32 v3, v[3:4], off
	v_lshlrev_b32_e32 v4, 1, v22
	v_add_co_u32 v1, vcc_lo, s30, v1
	v_add_co_ci_u32_e32 v2, vcc_lo, s31, v2, vcc_lo
	s_delay_alu instid0(VALU_DEP_3) | instskip(SKIP_2) | instid1(VALU_DEP_1)
	v_lshl_or_b32 v4, v9, 8, v4
	global_load_u16 v1, v[1:2], off
	v_lshlrev_b32_e32 v2, 2, v0
	v_and_b32_e32 v2, 28, v2
	s_waitcnt vmcnt(2)
	s_delay_alu instid0(VALU_DEP_1) | instskip(SKIP_3) | instid1(VALU_DEP_3)
	v_bfe_u32 v2, v5, v2, 4
	s_waitcnt vmcnt(1)
	v_lshrrev_b32_e32 v7, 12, v3
	v_lshrrev_b32_e32 v5, 4, v3
	v_add_nc_u32_e32 v2, s33, v2
	v_lshrrev_b32_e32 v6, 8, v3
	v_and_or_b32 v3, v3, s8, 0x43004300
	v_and_or_b32 v7, v7, s8, 0x43004300
	;; [unrolled: 1-line block ×3, first 2 shown]
	v_cvt_f32_u32_e32 v2, v2
	v_and_or_b32 v6, v6, s8, 0x43004300
	v_lshlrev_b32_e32 v8, 16, v3
	v_lshlrev_b32_e32 v12, 16, v7
	s_waitcnt vmcnt(0)
	v_dual_add_f32 v2, 0x43000000, v2 :: v_dual_lshlrev_b32 v1, 16, v1
	v_and_b32_e32 v7, 0x430f0000, v7
	v_lshlrev_b32_e32 v10, 16, v5
	v_and_b32_e32 v5, 0x430f0000, v5
	v_lshlrev_b32_e32 v11, 16, v6
	v_mul_f32_e64 v2, v1, -v2
	v_and_b32_e32 v3, 0x430f0000, v3
	v_and_b32_e32 v6, 0x430f0000, v6
	s_delay_alu instid0(VALU_DEP_3) | instskip(NEXT) | instid1(VALU_DEP_3)
	v_fma_f32 v8, v8, v1, v2
	v_fma_f32 v3, v3, v1, v2
	v_fma_f32 v10, v10, v1, v2
	v_fma_f32 v5, v5, v1, v2
	v_fma_f32 v11, v11, v1, v2
	v_fma_f32 v6, v6, v1, v2
	v_fma_f32 v12, v12, v1, v2
	v_fmac_f32_e32 v2, v7, v1
	v_bfe_u32 v1, v8, 16, 1
	v_bfe_u32 v7, v3, 16, 1
	;; [unrolled: 1-line block ×8, first 2 shown]
	v_add3_u32 v1, v8, v1, 0x7fff
	v_add3_u32 v3, v3, v7, 0x7fff
	;; [unrolled: 1-line block ×8, first 2 shown]
	ds_store_b16_d16_hi v4, v1
	ds_store_b16_d16_hi v4, v3 offset:32
	ds_store_b16_d16_hi v4, v7 offset:64
	;; [unrolled: 1-line block ×7, first 2 shown]
.LBB8_4:
	s_or_b32 exec_lo, exec_lo, s7
	v_lshrrev_b32_e32 v1, 5, v0
	s_cmp_gt_i32 s11, 0
	s_waitcnt lgkmcnt(0)
	s_barrier
	buffer_gl0_inv
	v_lshl_add_u32 v23, v1, 4, s6
	s_cbranch_scc1 .LBB8_6
; %bb.5:
	v_lshl_add_u32 v11, v1, 4, s6
	s_mov_b32 s6, 0
	s_mov_b32 s7, 0
	s_branch .LBB8_7
.LBB8_6:
	s_mov_b32 s6, -1
                                        ; implicit-def: $sgpr7
                                        ; implicit-def: $vgpr11
.LBB8_7:
	s_load_b64 s[28:29], s[0:1], 0x20
	v_dual_mov_b32 v8, s7 :: v_dual_mov_b32 v7, s7
	v_dual_mov_b32 v6, s7 :: v_dual_mov_b32 v5, s7
	;; [unrolled: 1-line block ×4, first 2 shown]
	s_and_not1_b32 vcc_lo, exec_lo, s6
	s_cbranch_vccz .LBB8_10
; %bb.8:
	s_cmp_lt_u32 s3, 2
	s_mov_b32 s0, -1
	s_cbranch_scc1 .LBB8_21
.LBB8_9:
	s_and_not1_b32 vcc_lo, exec_lo, s0
	s_cbranch_vccz .LBB8_71
	s_branch .LBB8_231
.LBB8_10:
	s_clause 0x1
	s_load_b64 s[8:9], s[0:1], 0x40
	s_load_b64 s[6:7], s[0:1], 0x0
	s_ashr_i32 s0, s21, 31
	s_ashr_i32 s1, s10, 31
	s_lshr_b32 s0, s0, 29
	s_add_i32 s23, s4, s11
	s_add_i32 s0, s21, s0
	s_lshr_b32 s1, s1, 29
	s_ashr_i32 s34, s0, 3
	v_or_b32_e32 v5, v23, v22
	v_dual_mov_b32 v1, 0 :: v_dual_lshlrev_b32 v2, 2, v0
	v_lshlrev_b32_e32 v4, 3, v9
	v_add_nc_u32_e32 v12, s1, v17
	s_delay_alu instid0(VALU_DEP_4)
	v_mul_lo_u32 v8, v5, s22
	v_cmp_le_i32_e64 s0, s21, v17
	v_and_b32_e32 v24, 28, v2
	v_cmp_gt_i32_e64 s1, s20, v5
	v_mov_b32_e32 v5, v1
	v_ashrrev_i32_e32 v18, 3, v12
	s_waitcnt lgkmcnt(0)
	s_cmp_lg_u64 s[8:9], 0
	s_mov_b32 s42, 0
	s_cselect_b32 s35, -1, 0
	s_abs_i32 s36, s5
	v_ashrrev_i32_e32 v9, 31, v8
	v_cvt_f32_u32_e32 v3, s36
	s_sub_i32 s10, 0, s36
	s_mov_b32 s41, 0xf000f
	v_mov_b32_e32 v2, v1
	v_lshlrev_b64 v[8:9], 1, v[8:9]
	v_rcp_iflag_f32_e32 v7, v3
	v_dual_mov_b32 v3, v1 :: v_dual_add_nc_u32 v6, v23, v22
	v_dual_mov_b32 v4, v1 :: v_dual_lshlrev_b32 v25, 5, v4
	s_delay_alu instid0(VALU_DEP_3) | instskip(NEXT) | instid1(VALU_DEP_4)
	v_add_co_u32 v26, vcc_lo, s6, v8
	v_add_co_ci_u32_e32 v27, vcc_lo, s7, v9, vcc_lo
	s_waitcnt_depctr 0xfff
	v_dual_mov_b32 v8, v1 :: v_dual_mul_f32 v7, 0x4f7ffffe, v7
	v_mul_lo_u32 v10, s22, v6
	s_ashr_i32 s22, s5, 31
	s_ashr_i32 s5, s4, 31
	v_mov_b32_e32 v6, v1
	v_cvt_u32_f32_e32 v13, v7
	v_mov_b32_e32 v7, v1
	s_delay_alu instid0(VALU_DEP_4) | instskip(NEXT) | instid1(VALU_DEP_3)
	v_ashrrev_i32_e32 v11, 31, v10
	v_readfirstlane_b32 s12, v13
	s_delay_alu instid0(VALU_DEP_2) | instskip(NEXT) | instid1(VALU_DEP_2)
	v_lshlrev_b64 v[10:11], 1, v[10:11]
	s_mul_i32 s10, s10, s12
	s_delay_alu instid0(SALU_CYCLE_1)
	s_mul_hi_u32 s13, s12, s10
	s_lshl_b64 s[10:11], s[4:5], 2
	s_add_i32 s37, s12, s13
	s_add_u32 s8, s10, s8
	s_addc_u32 s9, s11, s9
	s_add_u32 s38, s8, 60
	s_addc_u32 s39, s9, 0
	s_lshl_b64 s[8:9], s[4:5], 1
	s_add_i32 s40, s4, 16
	s_add_u32 s4, s6, s8
	s_addc_u32 s5, s7, s9
	v_add_co_u32 v19, vcc_lo, s4, v10
	v_add_co_ci_u32_e32 v20, vcc_lo, s5, v11, vcc_lo
.LBB8_11:                               ; =>This Inner Loop Header: Depth=1
	s_cmp_ge_i32 s40, s23
	s_cselect_b32 s4, -1, 0
	s_delay_alu instid0(SALU_CYCLE_1) | instskip(NEXT) | instid1(SALU_CYCLE_1)
	s_or_b32 s4, s2, s4
	s_or_b32 s4, s4, s0
	s_delay_alu instid0(SALU_CYCLE_1) | instskip(NEXT) | instid1(SALU_CYCLE_1)
	s_xor_b32 s5, s4, -1
	s_and_saveexec_b32 s4, s5
	s_cbranch_execz .LBB8_13
; %bb.12:                               ;   in Loop: Header=BB8_11 Depth=1
	s_abs_i32 s6, s40
	s_ashr_i32 s5, s40, 31
	s_mul_hi_u32 s8, s6, s37
	s_lshr_b32 s7, s5, 29
	s_mul_i32 s9, s8, s36
	s_add_i32 s7, s40, s7
	s_sub_i32 s6, s6, s9
	s_ashr_i32 s7, s7, 3
	s_xor_b32 s5, s5, s22
	s_add_i32 s9, s8, 1
	s_sub_i32 s10, s6, s36
	s_cmp_ge_u32 s6, s36
	v_add_nc_u32_e32 v13, s7, v21
	s_cselect_b32 s8, s9, s8
	s_cselect_b32 s6, s10, s6
	s_add_i32 s9, s8, 1
	s_cmp_ge_u32 s6, s36
	v_mad_u64_u32 v[11:12], null, v13, s21, v[17:18]
	s_cselect_b32 s6, s9, s8
	s_delay_alu instid0(SALU_CYCLE_1) | instskip(NEXT) | instid1(SALU_CYCLE_1)
	s_xor_b32 s6, s6, s5
	s_sub_i32 s5, s6, s5
	s_delay_alu instid0(SALU_CYCLE_1) | instskip(SKIP_1) | instid1(VALU_DEP_3)
	v_mad_u64_u32 v[9:10], null, s5, s34, v[18:19]
	v_mad_u64_u32 v[13:14], null, s5, s21, v[17:18]
	v_ashrrev_i32_e32 v12, 31, v11
	s_lshl_b32 s5, s42, 9
	s_delay_alu instid0(VALU_DEP_3) | instskip(NEXT) | instid1(VALU_DEP_2)
	v_ashrrev_i32_e32 v10, 31, v9
	v_lshlrev_b64 v[11:12], 2, v[11:12]
	s_delay_alu instid0(VALU_DEP_4) | instskip(NEXT) | instid1(VALU_DEP_3)
	v_ashrrev_i32_e32 v14, 31, v13
	v_lshlrev_b64 v[9:10], 2, v[9:10]
	s_delay_alu instid0(VALU_DEP_1) | instskip(NEXT) | instid1(VALU_DEP_2)
	v_add_co_u32 v9, vcc_lo, s26, v9
	v_add_co_ci_u32_e32 v10, vcc_lo, s27, v10, vcc_lo
	v_add_co_u32 v11, vcc_lo, s24, v11
	v_add_co_ci_u32_e32 v12, vcc_lo, s25, v12, vcc_lo
	global_load_b32 v15, v[9:10], off
	v_lshlrev_b64 v[9:10], 1, v[13:14]
	global_load_b32 v11, v[11:12], off
	v_add_co_u32 v9, vcc_lo, s30, v9
	v_add_co_ci_u32_e32 v10, vcc_lo, s31, v10, vcc_lo
	global_load_u16 v9, v[9:10], off
	v_subrev_nc_u32_e32 v10, s5, v25
	s_delay_alu instid0(VALU_DEP_1)
	v_lshl_or_b32 v10, v22, 1, v10
	s_waitcnt vmcnt(2)
	v_bfe_u32 v12, v15, v24, 4
	s_waitcnt vmcnt(1)
	v_lshrrev_b32_e32 v15, 12, v11
	v_lshrrev_b32_e32 v13, 4, v11
	s_delay_alu instid0(VALU_DEP_3)
	v_add_nc_u32_e32 v12, s33, v12
	v_lshrrev_b32_e32 v14, 8, v11
	v_and_or_b32 v11, v11, s41, 0x43004300
	v_and_or_b32 v15, v15, s41, 0x43004300
	;; [unrolled: 1-line block ×3, first 2 shown]
	v_cvt_f32_u32_e32 v12, v12
	v_and_or_b32 v14, v14, s41, 0x43004300
	v_lshlrev_b32_e32 v16, 16, v11
	v_lshlrev_b32_e32 v30, 16, v15
	s_waitcnt vmcnt(0)
	v_dual_add_f32 v12, 0x43000000, v12 :: v_dual_lshlrev_b32 v9, 16, v9
	v_and_b32_e32 v15, 0x430f0000, v15
	v_lshlrev_b32_e32 v28, 16, v13
	v_and_b32_e32 v13, 0x430f0000, v13
	v_lshlrev_b32_e32 v29, 16, v14
	v_mul_f32_e64 v12, v9, -v12
	v_and_b32_e32 v11, 0x430f0000, v11
	v_and_b32_e32 v14, 0x430f0000, v14
	s_delay_alu instid0(VALU_DEP_3) | instskip(NEXT) | instid1(VALU_DEP_3)
	v_fma_f32 v16, v16, v9, v12
	v_fma_f32 v11, v11, v9, v12
	;; [unrolled: 1-line block ×7, first 2 shown]
	v_fmac_f32_e32 v12, v15, v9
	v_bfe_u32 v9, v16, 16, 1
	v_bfe_u32 v15, v11, 16, 1
	;; [unrolled: 1-line block ×8, first 2 shown]
	v_add3_u32 v9, v16, v9, 0x7fff
	v_add3_u32 v11, v11, v15, 0x7fff
	;; [unrolled: 1-line block ×8, first 2 shown]
	ds_store_b16_d16_hi v10, v9 offset:512
	ds_store_b16_d16_hi v10, v11 offset:544
	;; [unrolled: 1-line block ×8, first 2 shown]
.LBB8_13:                               ;   in Loop: Header=BB8_11 Depth=1
	s_or_b32 exec_lo, exec_lo, s4
	v_dual_mov_b32 v9, 0 :: v_dual_mov_b32 v10, 0
	v_dual_mov_b32 v11, 0 :: v_dual_mov_b32 v12, 0
	;; [unrolled: 1-line block ×4, first 2 shown]
	s_and_saveexec_b32 s43, s1
	s_cbranch_execz .LBB8_17
; %bb.14:                               ;   in Loop: Header=BB8_11 Depth=1
	s_and_not1_b32 vcc_lo, exec_lo, s35
	s_cbranch_vccnz .LBB8_19
; %bb.15:                               ;   in Loop: Header=BB8_11 Depth=1
	s_add_u32 s4, s38, 0xffffffc4
	s_addc_u32 s5, s39, -1
	s_load_b512 s[4:19], s[4:5], 0x0
	s_waitcnt lgkmcnt(0)
	s_ashr_i32 s45, s4, 31
	s_mov_b32 s44, s4
	s_ashr_i32 s47, s5, 31
	s_lshl_b64 s[44:45], s[44:45], 1
	s_mov_b32 s46, s5
	v_add_co_u32 v9, vcc_lo, v26, s44
	s_lshl_b64 s[46:47], s[46:47], 1
	s_ashr_i32 s5, s6, 31
	s_mov_b32 s4, s6
	v_add_co_ci_u32_e32 v10, vcc_lo, s45, v27, vcc_lo
	v_add_co_u32 v11, vcc_lo, v26, s46
	s_lshl_b64 s[4:5], s[4:5], 1
	s_ashr_i32 s49, s7, 31
	s_mov_b32 s48, s7
	v_add_co_ci_u32_e32 v12, vcc_lo, s47, v27, vcc_lo
	v_add_co_u32 v13, vcc_lo, v26, s4
	s_lshl_b64 s[48:49], s[48:49], 1
	s_ashr_i32 s7, s8, 31
	v_add_co_ci_u32_e32 v14, vcc_lo, s5, v27, vcc_lo
	s_mov_b32 s6, s8
	v_add_co_u32 v15, vcc_lo, v26, s48
	s_lshl_b64 s[4:5], s[6:7], 1
	v_add_co_ci_u32_e32 v16, vcc_lo, s49, v27, vcc_lo
	s_ashr_i32 s7, s9, 31
	s_mov_b32 s6, s9
	v_add_co_u32 v28, vcc_lo, v26, s4
	v_add_co_ci_u32_e32 v29, vcc_lo, s5, v27, vcc_lo
	s_lshl_b64 s[4:5], s[6:7], 1
	s_ashr_i32 s7, s10, 31
	s_mov_b32 s6, s10
	v_add_co_u32 v30, vcc_lo, v26, s4
	v_add_co_ci_u32_e32 v31, vcc_lo, s5, v27, vcc_lo
	s_lshl_b64 s[4:5], s[6:7], 1
	;; [unrolled: 5-line block ×3, first 2 shown]
	s_ashr_i32 s7, s13, 31
	v_add_co_u32 v34, vcc_lo, v26, s4
	v_add_co_ci_u32_e32 v35, vcc_lo, s5, v27, vcc_lo
	s_ashr_i32 s5, s12, 31
	s_mov_b32 s4, s12
	s_clause 0x7
	global_load_u16 v36, v[9:10], off
	global_load_u16 v37, v[11:12], off
	;; [unrolled: 1-line block ×8, first 2 shown]
	s_lshl_b64 s[4:5], s[4:5], 1
	s_mov_b32 s6, s13
	v_add_co_u32 v9, vcc_lo, v26, s4
	v_add_co_ci_u32_e32 v10, vcc_lo, s5, v27, vcc_lo
	s_lshl_b64 s[4:5], s[6:7], 1
	s_ashr_i32 s7, s14, 31
	s_mov_b32 s6, s14
	v_add_co_u32 v11, vcc_lo, v26, s4
	v_add_co_ci_u32_e32 v12, vcc_lo, s5, v27, vcc_lo
	s_lshl_b64 s[4:5], s[6:7], 1
	s_ashr_i32 s7, s15, 31
	;; [unrolled: 5-line block ×6, first 2 shown]
	s_mov_b32 s6, s19
	v_add_co_u32 v32, vcc_lo, v26, s4
	v_add_co_ci_u32_e32 v33, vcc_lo, s5, v27, vcc_lo
	s_lshl_b64 s[4:5], s[6:7], 1
	s_delay_alu instid0(SALU_CYCLE_1)
	v_add_co_u32 v34, vcc_lo, v26, s4
	v_add_co_ci_u32_e32 v35, vcc_lo, s5, v27, vcc_lo
	s_clause 0x7
	global_load_u16 v44, v[9:10], off
	global_load_u16 v45, v[11:12], off
	;; [unrolled: 1-line block ×8, first 2 shown]
	s_waitcnt vmcnt(14)
	v_perm_b32 v9, v37, v36, 0x5040100
	s_waitcnt vmcnt(12)
	v_perm_b32 v10, v39, v38, 0x5040100
	s_waitcnt vmcnt(10)
	v_perm_b32 v11, v41, v40, 0x5040100
	s_waitcnt vmcnt(8)
	v_perm_b32 v12, v43, v42, 0x5040100
	s_waitcnt vmcnt(6)
	v_perm_b32 v13, v45, v44, 0x5040100
	s_waitcnt vmcnt(4)
	v_perm_b32 v14, v15, v14, 0x5040100
	s_waitcnt vmcnt(2)
	v_perm_b32 v15, v28, v16, 0x5040100
	s_waitcnt vmcnt(0)
	v_perm_b32 v16, v30, v29, 0x5040100
	s_cbranch_execnz .LBB8_17
.LBB8_16:                               ;   in Loop: Header=BB8_11 Depth=1
	s_clause 0x1
	global_load_b128 v[9:12], v[19:20], off
	global_load_b128 v[13:16], v[19:20], off offset:16
.LBB8_17:                               ;   in Loop: Header=BB8_11 Depth=1
	s_or_b32 exec_lo, exec_lo, s43
	v_lshlrev_b32_e32 v28, 1, v22
	v_add_co_u32 v19, vcc_lo, v19, 32
	v_add_co_ci_u32_e32 v20, vcc_lo, 0, v20, vcc_lo
	s_delay_alu instid0(VALU_DEP_3)
	v_lshl_or_b32 v28, s42, 9, v28
	s_sub_i32 s42, 1, s42
	s_add_u32 s38, s38, 64
	s_addc_u32 s39, s39, 0
	s_add_i32 s4, s40, 16
	ds_load_u16 v29, v28 offset:256
	ds_load_u16 v30, v28 offset:288
	;; [unrolled: 1-line block ×14, first 2 shown]
	ds_load_u16 v43, v28
	ds_load_u16 v28, v28 offset:32
	s_cmp_ge_i32 s40, s23
	s_waitcnt vmcnt(0) lgkmcnt(0)
	s_barrier
	buffer_gl0_inv
	v_perm_b32 v34, v34, v33, 0x5040100
	v_perm_b32 v33, v32, v31, 0x5040100
	;; [unrolled: 1-line block ×8, first 2 shown]
	s_delay_alu instid0(VALU_DEP_1)
	v_wmma_f32_16x16x16_bf16 v[1:8], v[9:16], v[28:35], v[1:8]
	s_cbranch_scc1 .LBB8_20
; %bb.18:                               ;   in Loop: Header=BB8_11 Depth=1
	s_mov_b32 s40, s4
	s_branch .LBB8_11
.LBB8_19:                               ;   in Loop: Header=BB8_11 Depth=1
                                        ; implicit-def: $vgpr16
	s_branch .LBB8_16
.LBB8_20:
	v_mov_b32_e32 v11, v23
	s_cmp_lt_u32 s3, 2
	s_mov_b32 s0, -1
	s_cbranch_scc0 .LBB8_9
.LBB8_21:
	s_mov_b32 s0, exec_lo
	v_cmpx_gt_i32_e64 s21, v17
	s_cbranch_execz .LBB8_70
; %bb.22:
	v_ashrrev_i32_e32 v18, 31, v17
	v_or_b32_e32 v12, v11, v21
	s_mov_b32 s1, exec_lo
	s_delay_alu instid0(VALU_DEP_2) | instskip(SKIP_1) | instid1(VALU_DEP_1)
	v_lshlrev_b64 v[9:10], 1, v[17:18]
	s_waitcnt lgkmcnt(0)
	v_add_co_u32 v9, vcc_lo, s28, v9
	s_delay_alu instid0(VALU_DEP_2)
	v_add_co_ci_u32_e32 v10, vcc_lo, s29, v10, vcc_lo
	v_cmpx_gt_i32_e64 s20, v12
	s_cbranch_execz .LBB8_28
; %bb.23:
	v_and_b32_e32 v13, 0x7f800000, v1
	s_delay_alu instid0(VALU_DEP_1) | instskip(SKIP_1) | instid1(SALU_CYCLE_1)
	v_cmp_ne_u32_e32 vcc_lo, 0x7f800000, v13
                                        ; implicit-def: $vgpr13
	s_and_saveexec_b32 s2, vcc_lo
	s_xor_b32 s2, exec_lo, s2
; %bb.24:
	v_bfe_u32 v13, v1, 16, 1
	s_delay_alu instid0(VALU_DEP_1)
	v_add3_u32 v13, v1, v13, 0x7fff
; %bb.25:
	s_and_not1_saveexec_b32 s2, s2
; %bb.26:
	v_and_b32_e32 v13, 0xffff, v1
	v_or_b32_e32 v14, 0x10000, v1
	s_delay_alu instid0(VALU_DEP_2) | instskip(NEXT) | instid1(VALU_DEP_2)
	v_cmp_eq_u32_e32 vcc_lo, 0, v13
	v_cndmask_b32_e32 v13, v14, v1, vcc_lo
; %bb.27:
	s_or_b32 exec_lo, exec_lo, s2
	v_mul_lo_u32 v14, v12, s21
	s_delay_alu instid0(VALU_DEP_1) | instskip(NEXT) | instid1(VALU_DEP_1)
	v_ashrrev_i32_e32 v15, 31, v14
	v_lshlrev_b64 v[14:15], 1, v[14:15]
	s_delay_alu instid0(VALU_DEP_1) | instskip(NEXT) | instid1(VALU_DEP_2)
	v_add_co_u32 v14, vcc_lo, v9, v14
	v_add_co_ci_u32_e32 v15, vcc_lo, v10, v15, vcc_lo
	global_store_d16_hi_b16 v[14:15], v13, off
.LBB8_28:
	s_or_b32 exec_lo, exec_lo, s1
	v_add3_u32 v12, v11, v21, 2
	s_mov_b32 s1, exec_lo
	s_delay_alu instid0(VALU_DEP_1)
	v_cmpx_gt_i32_e64 s20, v12
	s_cbranch_execz .LBB8_34
; %bb.29:
	v_and_b32_e32 v13, 0x7f800000, v2
	s_delay_alu instid0(VALU_DEP_1) | instskip(SKIP_1) | instid1(SALU_CYCLE_1)
	v_cmp_ne_u32_e32 vcc_lo, 0x7f800000, v13
                                        ; implicit-def: $vgpr13
	s_and_saveexec_b32 s2, vcc_lo
	s_xor_b32 s2, exec_lo, s2
; %bb.30:
	v_bfe_u32 v13, v2, 16, 1
	s_delay_alu instid0(VALU_DEP_1)
	v_add3_u32 v13, v2, v13, 0x7fff
; %bb.31:
	s_and_not1_saveexec_b32 s2, s2
; %bb.32:
	v_and_b32_e32 v13, 0xffff, v2
	v_or_b32_e32 v14, 0x10000, v2
	s_delay_alu instid0(VALU_DEP_2) | instskip(NEXT) | instid1(VALU_DEP_2)
	v_cmp_eq_u32_e32 vcc_lo, 0, v13
	v_cndmask_b32_e32 v13, v14, v2, vcc_lo
; %bb.33:
	s_or_b32 exec_lo, exec_lo, s2
	v_mul_lo_u32 v14, v12, s21
	s_delay_alu instid0(VALU_DEP_1) | instskip(NEXT) | instid1(VALU_DEP_1)
	v_ashrrev_i32_e32 v15, 31, v14
	v_lshlrev_b64 v[14:15], 1, v[14:15]
	s_delay_alu instid0(VALU_DEP_1) | instskip(NEXT) | instid1(VALU_DEP_2)
	v_add_co_u32 v14, vcc_lo, v9, v14
	v_add_co_ci_u32_e32 v15, vcc_lo, v10, v15, vcc_lo
	global_store_d16_hi_b16 v[14:15], v13, off
.LBB8_34:
	s_or_b32 exec_lo, exec_lo, s1
	v_add3_u32 v12, v11, v21, 4
	s_mov_b32 s1, exec_lo
	s_delay_alu instid0(VALU_DEP_1)
	;; [unrolled: 36-line block ×6, first 2 shown]
	v_cmpx_gt_i32_e64 s20, v12
	s_cbranch_execz .LBB8_64
; %bb.59:
	v_and_b32_e32 v13, 0x7f800000, v7
	s_delay_alu instid0(VALU_DEP_1) | instskip(SKIP_1) | instid1(SALU_CYCLE_1)
	v_cmp_ne_u32_e32 vcc_lo, 0x7f800000, v13
                                        ; implicit-def: $vgpr13
	s_and_saveexec_b32 s2, vcc_lo
	s_xor_b32 s2, exec_lo, s2
; %bb.60:
	v_bfe_u32 v13, v7, 16, 1
	s_delay_alu instid0(VALU_DEP_1)
	v_add3_u32 v13, v7, v13, 0x7fff
; %bb.61:
	s_and_not1_saveexec_b32 s2, s2
; %bb.62:
	v_and_b32_e32 v13, 0xffff, v7
	v_or_b32_e32 v14, 0x10000, v7
	s_delay_alu instid0(VALU_DEP_2) | instskip(NEXT) | instid1(VALU_DEP_2)
	v_cmp_eq_u32_e32 vcc_lo, 0, v13
	v_cndmask_b32_e32 v13, v14, v7, vcc_lo
; %bb.63:
	s_or_b32 exec_lo, exec_lo, s2
	v_mul_lo_u32 v14, v12, s21
	s_delay_alu instid0(VALU_DEP_1) | instskip(NEXT) | instid1(VALU_DEP_1)
	v_ashrrev_i32_e32 v15, 31, v14
	v_lshlrev_b64 v[14:15], 1, v[14:15]
	s_delay_alu instid0(VALU_DEP_1) | instskip(NEXT) | instid1(VALU_DEP_2)
	v_add_co_u32 v14, vcc_lo, v9, v14
	v_add_co_ci_u32_e32 v15, vcc_lo, v10, v15, vcc_lo
	global_store_d16_hi_b16 v[14:15], v13, off
.LBB8_64:
	s_or_b32 exec_lo, exec_lo, s1
	v_add3_u32 v12, v11, v21, 14
	s_delay_alu instid0(VALU_DEP_1)
	v_cmp_gt_i32_e32 vcc_lo, s20, v12
	s_and_b32 exec_lo, exec_lo, vcc_lo
	s_cbranch_execz .LBB8_70
; %bb.65:
	v_and_b32_e32 v13, 0x7f800000, v8
	s_delay_alu instid0(VALU_DEP_1) | instskip(SKIP_1) | instid1(SALU_CYCLE_1)
	v_cmp_ne_u32_e32 vcc_lo, 0x7f800000, v13
                                        ; implicit-def: $vgpr13
	s_and_saveexec_b32 s1, vcc_lo
	s_xor_b32 s1, exec_lo, s1
; %bb.66:
	v_bfe_u32 v13, v8, 16, 1
	s_delay_alu instid0(VALU_DEP_1)
	v_add3_u32 v13, v8, v13, 0x7fff
; %bb.67:
	s_and_not1_saveexec_b32 s1, s1
; %bb.68:
	v_and_b32_e32 v13, 0xffff, v8
	v_or_b32_e32 v14, 0x10000, v8
	s_delay_alu instid0(VALU_DEP_2) | instskip(NEXT) | instid1(VALU_DEP_2)
	v_cmp_eq_u32_e32 vcc_lo, 0, v13
	v_cndmask_b32_e32 v13, v14, v8, vcc_lo
; %bb.69:
	s_or_b32 exec_lo, exec_lo, s1
	v_mul_lo_u32 v14, v12, s21
	s_delay_alu instid0(VALU_DEP_1) | instskip(NEXT) | instid1(VALU_DEP_1)
	v_ashrrev_i32_e32 v15, 31, v14
	v_lshlrev_b64 v[14:15], 1, v[14:15]
	s_delay_alu instid0(VALU_DEP_1) | instskip(NEXT) | instid1(VALU_DEP_2)
	v_add_co_u32 v9, vcc_lo, v9, v14
	v_add_co_ci_u32_e32 v10, vcc_lo, v10, v15, vcc_lo
	global_store_d16_hi_b16 v[9:10], v13, off
.LBB8_70:
	s_or_b32 exec_lo, exec_lo, s0
	s_cbranch_execnz .LBB8_231
.LBB8_71:
	v_mbcnt_lo_u32_b32 v9, -1, 0
	v_ashrrev_i32_e32 v18, 31, v17
	v_and_b32_e32 v0, 1, v0
	s_delay_alu instid0(VALU_DEP_3) | instskip(NEXT) | instid1(VALU_DEP_3)
	v_xor_b32_e32 v10, 1, v9
	v_lshlrev_b64 v[12:13], 1, v[17:18]
	s_delay_alu instid0(VALU_DEP_3) | instskip(NEXT) | instid1(VALU_DEP_3)
	v_cmp_eq_u32_e64 s0, 0, v0
	v_cmp_gt_i32_e32 vcc_lo, 32, v10
	s_waitcnt lgkmcnt(0)
	s_delay_alu instid0(VALU_DEP_3) | instskip(NEXT) | instid1(VALU_DEP_1)
	v_add_co_u32 v12, s1, s28, v12
	v_add_co_ci_u32_e64 v13, s1, s29, v13, s1
	v_cndmask_b32_e32 v9, v9, v10, vcc_lo
	v_cmp_gt_i32_e32 vcc_lo, s21, v17
	s_delay_alu instid0(VALU_DEP_2)
	v_lshlrev_b32_e32 v14, 2, v9
	ds_bpermute_b32 v9, v14, v1
	s_and_saveexec_b32 s2, s0
	s_cbranch_execz .LBB8_91
; %bb.72:
	v_or_b32_e32 v0, v11, v21
	s_delay_alu instid0(VALU_DEP_1) | instskip(NEXT) | instid1(VALU_DEP_1)
	v_cmp_gt_i32_e64 s1, s20, v0
	s_and_b32 s1, s1, vcc_lo
	s_delay_alu instid0(SALU_CYCLE_1)
	s_and_b32 exec_lo, exec_lo, s1
	s_cbranch_execz .LBB8_91
; %bb.73:
	v_and_b32_e32 v10, 0x7f800000, v1
                                        ; implicit-def: $vgpr15
	s_delay_alu instid0(VALU_DEP_1) | instskip(NEXT) | instid1(VALU_DEP_1)
	v_cmp_ne_u32_e64 s1, 0x7f800000, v10
	s_and_saveexec_b32 s3, s1
	s_delay_alu instid0(SALU_CYCLE_1)
	s_xor_b32 s1, exec_lo, s3
; %bb.74:
	v_bfe_u32 v10, v1, 16, 1
	s_delay_alu instid0(VALU_DEP_1)
	v_add3_u32 v15, v1, v10, 0x7fff
; %bb.75:
	s_and_not1_saveexec_b32 s3, s1
; %bb.76:
	v_and_b32_e32 v10, 0xffff, v1
	v_or_b32_e32 v15, 0x10000, v1
	s_delay_alu instid0(VALU_DEP_2) | instskip(NEXT) | instid1(VALU_DEP_1)
	v_cmp_eq_u32_e64 s1, 0, v10
	v_cndmask_b32_e64 v15, v15, v1, s1
; %bb.77:
	s_or_b32 exec_lo, exec_lo, s3
	s_waitcnt lgkmcnt(0)
	v_and_b32_e32 v1, 0x7f800000, v9
                                        ; implicit-def: $vgpr16
	s_delay_alu instid0(VALU_DEP_1) | instskip(NEXT) | instid1(VALU_DEP_1)
	v_cmp_ne_u32_e64 s1, 0x7f800000, v1
	s_and_saveexec_b32 s3, s1
	s_delay_alu instid0(SALU_CYCLE_1)
	s_xor_b32 s1, exec_lo, s3
; %bb.78:
	v_bfe_u32 v1, v9, 16, 1
	s_delay_alu instid0(VALU_DEP_1)
	v_add3_u32 v16, v9, v1, 0x7fff
                                        ; implicit-def: $vgpr9
; %bb.79:
	s_and_not1_saveexec_b32 s3, s1
; %bb.80:
	v_and_b32_e32 v1, 0xffff, v9
	v_or_b32_e32 v10, 0x10000, v9
	s_delay_alu instid0(VALU_DEP_2) | instskip(NEXT) | instid1(VALU_DEP_1)
	v_cmp_eq_u32_e64 s1, 0, v1
	v_cndmask_b32_e64 v16, v10, v9, s1
; %bb.81:
	s_or_b32 exec_lo, exec_lo, s3
	v_mul_lo_u32 v0, v0, s21
	v_and_b32_e32 v15, 0xffff0000, v15
	s_delay_alu instid0(VALU_DEP_3) | instskip(SKIP_1) | instid1(VALU_DEP_3)
	v_and_b32_e32 v16, 0xffff0000, v16
	s_mov_b32 s3, 0
	v_ashrrev_i32_e32 v1, 31, v0
	s_delay_alu instid0(VALU_DEP_1) | instskip(NEXT) | instid1(VALU_DEP_1)
	v_lshlrev_b64 v[0:1], 1, v[0:1]
	v_add_co_u32 v0, s1, v12, v0
	s_delay_alu instid0(VALU_DEP_1)
	v_add_co_ci_u32_e64 v1, s1, v13, v1, s1
	global_load_b32 v10, v[0:1], off
	s_branch .LBB8_83
.LBB8_82:                               ;   in Loop: Header=BB8_83 Depth=1
	s_or_b32 exec_lo, exec_lo, s4
	v_lshrrev_b32_e32 v9, 16, v9
	s_delay_alu instid0(VALU_DEP_1) | instskip(SKIP_4) | instid1(VALU_DEP_2)
	v_and_or_b32 v9, 0xffff0000, v18, v9
	global_atomic_cmpswap_b32 v9, v[0:1], v[9:10], off glc
	s_waitcnt vmcnt(0)
	v_cmp_eq_u32_e64 s1, v9, v10
	v_mov_b32_e32 v10, v9
	s_or_b32 s3, s1, s3
	s_delay_alu instid0(SALU_CYCLE_1)
	s_and_not1_b32 exec_lo, exec_lo, s3
	s_cbranch_execz .LBB8_91
.LBB8_83:                               ; =>This Inner Loop Header: Depth=1
	s_waitcnt vmcnt(0)
	v_lshlrev_b32_e32 v9, 16, v10
	s_delay_alu instid0(VALU_DEP_1) | instskip(NEXT) | instid1(VALU_DEP_1)
	v_add_f32_e32 v17, v15, v9
	v_and_b32_e32 v9, 0x7f800000, v17
	s_delay_alu instid0(VALU_DEP_1) | instskip(NEXT) | instid1(VALU_DEP_1)
	v_cmp_ne_u32_e64 s1, 0x7f800000, v9
                                        ; implicit-def: $vgpr9
	s_and_saveexec_b32 s4, s1
	s_delay_alu instid0(SALU_CYCLE_1)
	s_xor_b32 s1, exec_lo, s4
; %bb.84:                               ;   in Loop: Header=BB8_83 Depth=1
	v_bfe_u32 v9, v17, 16, 1
	s_delay_alu instid0(VALU_DEP_1)
	v_add3_u32 v9, v17, v9, 0x7fff
                                        ; implicit-def: $vgpr17
; %bb.85:                               ;   in Loop: Header=BB8_83 Depth=1
	s_and_not1_saveexec_b32 s4, s1
; %bb.86:                               ;   in Loop: Header=BB8_83 Depth=1
	v_and_b32_e32 v9, 0xffff, v17
	v_or_b32_e32 v18, 0x10000, v17
	s_delay_alu instid0(VALU_DEP_2) | instskip(NEXT) | instid1(VALU_DEP_1)
	v_cmp_eq_u32_e64 s1, 0, v9
	v_cndmask_b32_e64 v9, v18, v17, s1
; %bb.87:                               ;   in Loop: Header=BB8_83 Depth=1
	s_or_b32 exec_lo, exec_lo, s4
	v_and_b32_e32 v17, 0xffff0000, v10
	s_delay_alu instid0(VALU_DEP_1) | instskip(NEXT) | instid1(VALU_DEP_1)
	v_add_f32_e32 v17, v16, v17
	v_and_b32_e32 v18, 0x7f800000, v17
	s_delay_alu instid0(VALU_DEP_1) | instskip(NEXT) | instid1(VALU_DEP_1)
	v_cmp_ne_u32_e64 s1, 0x7f800000, v18
                                        ; implicit-def: $vgpr18
	s_and_saveexec_b32 s4, s1
	s_delay_alu instid0(SALU_CYCLE_1)
	s_xor_b32 s1, exec_lo, s4
; %bb.88:                               ;   in Loop: Header=BB8_83 Depth=1
	v_bfe_u32 v18, v17, 16, 1
	s_delay_alu instid0(VALU_DEP_1)
	v_add3_u32 v18, v17, v18, 0x7fff
                                        ; implicit-def: $vgpr17
; %bb.89:                               ;   in Loop: Header=BB8_83 Depth=1
	s_and_not1_saveexec_b32 s4, s1
	s_cbranch_execz .LBB8_82
; %bb.90:                               ;   in Loop: Header=BB8_83 Depth=1
	v_and_b32_e32 v18, 0xffff, v17
	v_or_b32_e32 v19, 0x10000, v17
	s_delay_alu instid0(VALU_DEP_2) | instskip(NEXT) | instid1(VALU_DEP_1)
	v_cmp_eq_u32_e64 s1, 0, v18
	v_cndmask_b32_e64 v18, v19, v17, s1
	s_branch .LBB8_82
.LBB8_91:
	s_or_b32 exec_lo, exec_lo, s2
	ds_bpermute_b32 v1, v14, v2
	s_and_saveexec_b32 s2, s0
	s_cbranch_execz .LBB8_111
; %bb.92:
	v_add3_u32 v0, v11, v21, 2
	s_delay_alu instid0(VALU_DEP_1) | instskip(NEXT) | instid1(VALU_DEP_1)
	v_cmp_gt_i32_e64 s1, s20, v0
	s_and_b32 s1, s1, vcc_lo
	s_delay_alu instid0(SALU_CYCLE_1)
	s_and_b32 exec_lo, exec_lo, s1
	s_cbranch_execz .LBB8_111
; %bb.93:
	s_waitcnt lgkmcnt(1)
	v_and_b32_e32 v9, 0x7f800000, v2
	s_delay_alu instid0(VALU_DEP_1) | instskip(NEXT) | instid1(VALU_DEP_1)
	v_cmp_ne_u32_e64 s1, 0x7f800000, v9
                                        ; implicit-def: $vgpr9
	s_and_saveexec_b32 s3, s1
	s_delay_alu instid0(SALU_CYCLE_1)
	s_xor_b32 s1, exec_lo, s3
; %bb.94:
	v_bfe_u32 v9, v2, 16, 1
	s_delay_alu instid0(VALU_DEP_1)
	v_add3_u32 v9, v2, v9, 0x7fff
; %bb.95:
	s_and_not1_saveexec_b32 s3, s1
; %bb.96:
	v_and_b32_e32 v9, 0xffff, v2
	v_or_b32_e32 v10, 0x10000, v2
	s_delay_alu instid0(VALU_DEP_2) | instskip(NEXT) | instid1(VALU_DEP_1)
	v_cmp_eq_u32_e64 s1, 0, v9
	v_cndmask_b32_e64 v9, v10, v2, s1
; %bb.97:
	s_or_b32 exec_lo, exec_lo, s3
	s_waitcnt lgkmcnt(0)
	v_and_b32_e32 v2, 0x7f800000, v1
                                        ; implicit-def: $vgpr15
	s_delay_alu instid0(VALU_DEP_1) | instskip(NEXT) | instid1(VALU_DEP_1)
	v_cmp_ne_u32_e64 s1, 0x7f800000, v2
	s_and_saveexec_b32 s3, s1
	s_delay_alu instid0(SALU_CYCLE_1)
	s_xor_b32 s1, exec_lo, s3
; %bb.98:
	v_bfe_u32 v2, v1, 16, 1
	s_delay_alu instid0(VALU_DEP_1)
	v_add3_u32 v15, v1, v2, 0x7fff
                                        ; implicit-def: $vgpr1
; %bb.99:
	s_and_not1_saveexec_b32 s3, s1
; %bb.100:
	v_and_b32_e32 v2, 0xffff, v1
	v_or_b32_e32 v10, 0x10000, v1
	s_delay_alu instid0(VALU_DEP_2) | instskip(NEXT) | instid1(VALU_DEP_1)
	v_cmp_eq_u32_e64 s1, 0, v2
	v_cndmask_b32_e64 v15, v10, v1, s1
; %bb.101:
	s_or_b32 exec_lo, exec_lo, s3
	v_mul_lo_u32 v0, v0, s21
	v_and_b32_e32 v2, 0xffff0000, v9
	s_delay_alu instid0(VALU_DEP_3) | instskip(SKIP_1) | instid1(VALU_DEP_3)
	v_and_b32_e32 v15, 0xffff0000, v15
	s_mov_b32 s3, 0
	v_ashrrev_i32_e32 v1, 31, v0
	s_delay_alu instid0(VALU_DEP_1) | instskip(NEXT) | instid1(VALU_DEP_1)
	v_lshlrev_b64 v[0:1], 1, v[0:1]
	v_add_co_u32 v0, s1, v12, v0
	s_delay_alu instid0(VALU_DEP_1)
	v_add_co_ci_u32_e64 v1, s1, v13, v1, s1
	global_load_b32 v10, v[0:1], off
	s_branch .LBB8_103
.LBB8_102:                              ;   in Loop: Header=BB8_103 Depth=1
	s_or_b32 exec_lo, exec_lo, s4
	v_lshrrev_b32_e32 v9, 16, v9
	s_delay_alu instid0(VALU_DEP_1) | instskip(SKIP_4) | instid1(VALU_DEP_2)
	v_and_or_b32 v9, 0xffff0000, v17, v9
	global_atomic_cmpswap_b32 v9, v[0:1], v[9:10], off glc
	s_waitcnt vmcnt(0)
	v_cmp_eq_u32_e64 s1, v9, v10
	v_mov_b32_e32 v10, v9
	s_or_b32 s3, s1, s3
	s_delay_alu instid0(SALU_CYCLE_1)
	s_and_not1_b32 exec_lo, exec_lo, s3
	s_cbranch_execz .LBB8_111
.LBB8_103:                              ; =>This Inner Loop Header: Depth=1
	s_waitcnt vmcnt(0)
	v_lshlrev_b32_e32 v9, 16, v10
	s_delay_alu instid0(VALU_DEP_1) | instskip(NEXT) | instid1(VALU_DEP_1)
	v_add_f32_e32 v16, v2, v9
	v_and_b32_e32 v9, 0x7f800000, v16
	s_delay_alu instid0(VALU_DEP_1) | instskip(NEXT) | instid1(VALU_DEP_1)
	v_cmp_ne_u32_e64 s1, 0x7f800000, v9
                                        ; implicit-def: $vgpr9
	s_and_saveexec_b32 s4, s1
	s_delay_alu instid0(SALU_CYCLE_1)
	s_xor_b32 s1, exec_lo, s4
; %bb.104:                              ;   in Loop: Header=BB8_103 Depth=1
	v_bfe_u32 v9, v16, 16, 1
	s_delay_alu instid0(VALU_DEP_1)
	v_add3_u32 v9, v16, v9, 0x7fff
                                        ; implicit-def: $vgpr16
; %bb.105:                              ;   in Loop: Header=BB8_103 Depth=1
	s_and_not1_saveexec_b32 s4, s1
; %bb.106:                              ;   in Loop: Header=BB8_103 Depth=1
	v_and_b32_e32 v9, 0xffff, v16
	v_or_b32_e32 v17, 0x10000, v16
	s_delay_alu instid0(VALU_DEP_2) | instskip(NEXT) | instid1(VALU_DEP_1)
	v_cmp_eq_u32_e64 s1, 0, v9
	v_cndmask_b32_e64 v9, v17, v16, s1
; %bb.107:                              ;   in Loop: Header=BB8_103 Depth=1
	s_or_b32 exec_lo, exec_lo, s4
	v_and_b32_e32 v16, 0xffff0000, v10
	s_delay_alu instid0(VALU_DEP_1) | instskip(NEXT) | instid1(VALU_DEP_1)
	v_add_f32_e32 v16, v15, v16
	v_and_b32_e32 v17, 0x7f800000, v16
	s_delay_alu instid0(VALU_DEP_1) | instskip(NEXT) | instid1(VALU_DEP_1)
	v_cmp_ne_u32_e64 s1, 0x7f800000, v17
                                        ; implicit-def: $vgpr17
	s_and_saveexec_b32 s4, s1
	s_delay_alu instid0(SALU_CYCLE_1)
	s_xor_b32 s1, exec_lo, s4
; %bb.108:                              ;   in Loop: Header=BB8_103 Depth=1
	v_bfe_u32 v17, v16, 16, 1
	s_delay_alu instid0(VALU_DEP_1)
	v_add3_u32 v17, v16, v17, 0x7fff
                                        ; implicit-def: $vgpr16
; %bb.109:                              ;   in Loop: Header=BB8_103 Depth=1
	s_and_not1_saveexec_b32 s4, s1
	s_cbranch_execz .LBB8_102
; %bb.110:                              ;   in Loop: Header=BB8_103 Depth=1
	v_and_b32_e32 v17, 0xffff, v16
	v_or_b32_e32 v18, 0x10000, v16
	s_delay_alu instid0(VALU_DEP_2) | instskip(NEXT) | instid1(VALU_DEP_1)
	v_cmp_eq_u32_e64 s1, 0, v17
	v_cndmask_b32_e64 v17, v18, v16, s1
	s_branch .LBB8_102
.LBB8_111:
	s_or_b32 exec_lo, exec_lo, s2
	s_waitcnt lgkmcnt(0)
	ds_bpermute_b32 v1, v14, v3
	s_and_saveexec_b32 s2, s0
	s_cbranch_execz .LBB8_131
; %bb.112:
	v_add3_u32 v0, v11, v21, 4
	s_delay_alu instid0(VALU_DEP_1) | instskip(NEXT) | instid1(VALU_DEP_1)
	v_cmp_gt_i32_e64 s1, s20, v0
	s_and_b32 s1, s1, vcc_lo
	s_delay_alu instid0(SALU_CYCLE_1)
	s_and_b32 exec_lo, exec_lo, s1
	s_cbranch_execz .LBB8_131
; %bb.113:
	v_and_b32_e32 v2, 0x7f800000, v3
	s_delay_alu instid0(VALU_DEP_1) | instskip(NEXT) | instid1(VALU_DEP_1)
	v_cmp_ne_u32_e64 s1, 0x7f800000, v2
                                        ; implicit-def: $vgpr2
	s_and_saveexec_b32 s3, s1
	s_delay_alu instid0(SALU_CYCLE_1)
	s_xor_b32 s1, exec_lo, s3
; %bb.114:
	v_bfe_u32 v2, v3, 16, 1
	s_delay_alu instid0(VALU_DEP_1)
	v_add3_u32 v2, v3, v2, 0x7fff
; %bb.115:
	s_and_not1_saveexec_b32 s3, s1
; %bb.116:
	v_and_b32_e32 v2, 0xffff, v3
	v_or_b32_e32 v9, 0x10000, v3
	s_delay_alu instid0(VALU_DEP_2) | instskip(NEXT) | instid1(VALU_DEP_1)
	v_cmp_eq_u32_e64 s1, 0, v2
	v_cndmask_b32_e64 v2, v9, v3, s1
; %bb.117:
	s_or_b32 exec_lo, exec_lo, s3
	s_waitcnt lgkmcnt(0)
	v_and_b32_e32 v3, 0x7f800000, v1
                                        ; implicit-def: $vgpr10
	s_delay_alu instid0(VALU_DEP_1) | instskip(NEXT) | instid1(VALU_DEP_1)
	v_cmp_ne_u32_e64 s1, 0x7f800000, v3
	s_and_saveexec_b32 s3, s1
	s_delay_alu instid0(SALU_CYCLE_1)
	s_xor_b32 s1, exec_lo, s3
; %bb.118:
	v_bfe_u32 v3, v1, 16, 1
	s_delay_alu instid0(VALU_DEP_1)
	v_add3_u32 v10, v1, v3, 0x7fff
                                        ; implicit-def: $vgpr1
; %bb.119:
	s_and_not1_saveexec_b32 s3, s1
; %bb.120:
	v_and_b32_e32 v3, 0xffff, v1
	v_or_b32_e32 v9, 0x10000, v1
	s_delay_alu instid0(VALU_DEP_2) | instskip(NEXT) | instid1(VALU_DEP_1)
	v_cmp_eq_u32_e64 s1, 0, v3
	v_cndmask_b32_e64 v10, v9, v1, s1
; %bb.121:
	s_or_b32 exec_lo, exec_lo, s3
	v_mul_lo_u32 v0, v0, s21
	v_and_b32_e32 v9, 0xffff0000, v2
	s_delay_alu instid0(VALU_DEP_3) | instskip(SKIP_1) | instid1(VALU_DEP_3)
	v_and_b32_e32 v10, 0xffff0000, v10
	s_mov_b32 s3, 0
	v_ashrrev_i32_e32 v1, 31, v0
	s_delay_alu instid0(VALU_DEP_1) | instskip(NEXT) | instid1(VALU_DEP_1)
	v_lshlrev_b64 v[0:1], 1, v[0:1]
	v_add_co_u32 v0, s1, v12, v0
	s_delay_alu instid0(VALU_DEP_1)
	v_add_co_ci_u32_e64 v1, s1, v13, v1, s1
	global_load_b32 v3, v[0:1], off
	s_branch .LBB8_123
.LBB8_122:                              ;   in Loop: Header=BB8_123 Depth=1
	s_or_b32 exec_lo, exec_lo, s4
	v_lshrrev_b32_e32 v2, 16, v2
	s_delay_alu instid0(VALU_DEP_1) | instskip(SKIP_4) | instid1(VALU_DEP_2)
	v_and_or_b32 v2, 0xffff0000, v16, v2
	global_atomic_cmpswap_b32 v2, v[0:1], v[2:3], off glc
	s_waitcnt vmcnt(0)
	v_cmp_eq_u32_e64 s1, v2, v3
	v_mov_b32_e32 v3, v2
	s_or_b32 s3, s1, s3
	s_delay_alu instid0(SALU_CYCLE_1)
	s_and_not1_b32 exec_lo, exec_lo, s3
	s_cbranch_execz .LBB8_131
.LBB8_123:                              ; =>This Inner Loop Header: Depth=1
	s_waitcnt vmcnt(0)
	v_lshlrev_b32_e32 v2, 16, v3
	s_delay_alu instid0(VALU_DEP_1) | instskip(NEXT) | instid1(VALU_DEP_1)
	v_add_f32_e32 v15, v9, v2
	v_and_b32_e32 v2, 0x7f800000, v15
	s_delay_alu instid0(VALU_DEP_1) | instskip(NEXT) | instid1(VALU_DEP_1)
	v_cmp_ne_u32_e64 s1, 0x7f800000, v2
                                        ; implicit-def: $vgpr2
	s_and_saveexec_b32 s4, s1
	s_delay_alu instid0(SALU_CYCLE_1)
	s_xor_b32 s1, exec_lo, s4
; %bb.124:                              ;   in Loop: Header=BB8_123 Depth=1
	v_bfe_u32 v2, v15, 16, 1
	s_delay_alu instid0(VALU_DEP_1)
	v_add3_u32 v2, v15, v2, 0x7fff
                                        ; implicit-def: $vgpr15
; %bb.125:                              ;   in Loop: Header=BB8_123 Depth=1
	s_and_not1_saveexec_b32 s4, s1
; %bb.126:                              ;   in Loop: Header=BB8_123 Depth=1
	v_and_b32_e32 v2, 0xffff, v15
	v_or_b32_e32 v16, 0x10000, v15
	s_delay_alu instid0(VALU_DEP_2) | instskip(NEXT) | instid1(VALU_DEP_1)
	v_cmp_eq_u32_e64 s1, 0, v2
	v_cndmask_b32_e64 v2, v16, v15, s1
; %bb.127:                              ;   in Loop: Header=BB8_123 Depth=1
	s_or_b32 exec_lo, exec_lo, s4
	v_and_b32_e32 v15, 0xffff0000, v3
	s_delay_alu instid0(VALU_DEP_1) | instskip(NEXT) | instid1(VALU_DEP_1)
	v_add_f32_e32 v15, v10, v15
	v_and_b32_e32 v16, 0x7f800000, v15
	s_delay_alu instid0(VALU_DEP_1) | instskip(NEXT) | instid1(VALU_DEP_1)
	v_cmp_ne_u32_e64 s1, 0x7f800000, v16
                                        ; implicit-def: $vgpr16
	s_and_saveexec_b32 s4, s1
	s_delay_alu instid0(SALU_CYCLE_1)
	s_xor_b32 s1, exec_lo, s4
; %bb.128:                              ;   in Loop: Header=BB8_123 Depth=1
	v_bfe_u32 v16, v15, 16, 1
	s_delay_alu instid0(VALU_DEP_1)
	v_add3_u32 v16, v15, v16, 0x7fff
                                        ; implicit-def: $vgpr15
; %bb.129:                              ;   in Loop: Header=BB8_123 Depth=1
	s_and_not1_saveexec_b32 s4, s1
	s_cbranch_execz .LBB8_122
; %bb.130:                              ;   in Loop: Header=BB8_123 Depth=1
	v_and_b32_e32 v16, 0xffff, v15
	v_or_b32_e32 v17, 0x10000, v15
	s_delay_alu instid0(VALU_DEP_2) | instskip(NEXT) | instid1(VALU_DEP_1)
	v_cmp_eq_u32_e64 s1, 0, v16
	v_cndmask_b32_e64 v16, v17, v15, s1
	s_branch .LBB8_122
.LBB8_131:
	s_or_b32 exec_lo, exec_lo, s2
	s_waitcnt lgkmcnt(0)
	ds_bpermute_b32 v1, v14, v4
	s_and_saveexec_b32 s2, s0
	s_cbranch_execz .LBB8_151
; %bb.132:
	v_add3_u32 v0, v11, v21, 6
	s_delay_alu instid0(VALU_DEP_1) | instskip(NEXT) | instid1(VALU_DEP_1)
	v_cmp_gt_i32_e64 s1, s20, v0
	s_and_b32 s1, s1, vcc_lo
	s_delay_alu instid0(SALU_CYCLE_1)
	s_and_b32 exec_lo, exec_lo, s1
	s_cbranch_execz .LBB8_151
; %bb.133:
	v_and_b32_e32 v2, 0x7f800000, v4
	s_delay_alu instid0(VALU_DEP_1) | instskip(NEXT) | instid1(VALU_DEP_1)
	v_cmp_ne_u32_e64 s1, 0x7f800000, v2
                                        ; implicit-def: $vgpr2
	s_and_saveexec_b32 s3, s1
	s_delay_alu instid0(SALU_CYCLE_1)
	s_xor_b32 s1, exec_lo, s3
; %bb.134:
	v_bfe_u32 v2, v4, 16, 1
	s_delay_alu instid0(VALU_DEP_1)
	v_add3_u32 v2, v4, v2, 0x7fff
; %bb.135:
	s_and_not1_saveexec_b32 s3, s1
; %bb.136:
	v_and_b32_e32 v2, 0xffff, v4
	v_or_b32_e32 v3, 0x10000, v4
	s_delay_alu instid0(VALU_DEP_2) | instskip(NEXT) | instid1(VALU_DEP_1)
	v_cmp_eq_u32_e64 s1, 0, v2
	v_cndmask_b32_e64 v2, v3, v4, s1
; %bb.137:
	s_or_b32 exec_lo, exec_lo, s3
	s_waitcnt lgkmcnt(0)
	v_and_b32_e32 v3, 0x7f800000, v1
                                        ; implicit-def: $vgpr9
	s_delay_alu instid0(VALU_DEP_1) | instskip(NEXT) | instid1(VALU_DEP_1)
	v_cmp_ne_u32_e64 s1, 0x7f800000, v3
	s_and_saveexec_b32 s3, s1
	s_delay_alu instid0(SALU_CYCLE_1)
	s_xor_b32 s1, exec_lo, s3
; %bb.138:
	v_bfe_u32 v3, v1, 16, 1
	s_delay_alu instid0(VALU_DEP_1)
	v_add3_u32 v9, v1, v3, 0x7fff
                                        ; implicit-def: $vgpr1
; %bb.139:
	s_and_not1_saveexec_b32 s3, s1
; %bb.140:
	v_and_b32_e32 v3, 0xffff, v1
	v_or_b32_e32 v4, 0x10000, v1
	s_delay_alu instid0(VALU_DEP_2) | instskip(NEXT) | instid1(VALU_DEP_1)
	v_cmp_eq_u32_e64 s1, 0, v3
	v_cndmask_b32_e64 v9, v4, v1, s1
; %bb.141:
	s_or_b32 exec_lo, exec_lo, s3
	v_mul_lo_u32 v0, v0, s21
	v_and_b32_e32 v4, 0xffff0000, v2
	s_delay_alu instid0(VALU_DEP_3) | instskip(SKIP_1) | instid1(VALU_DEP_3)
	v_and_b32_e32 v9, 0xffff0000, v9
	s_mov_b32 s3, 0
	v_ashrrev_i32_e32 v1, 31, v0
	s_delay_alu instid0(VALU_DEP_1) | instskip(NEXT) | instid1(VALU_DEP_1)
	v_lshlrev_b64 v[0:1], 1, v[0:1]
	v_add_co_u32 v0, s1, v12, v0
	s_delay_alu instid0(VALU_DEP_1)
	v_add_co_ci_u32_e64 v1, s1, v13, v1, s1
	global_load_b32 v3, v[0:1], off
	s_branch .LBB8_143
.LBB8_142:                              ;   in Loop: Header=BB8_143 Depth=1
	s_or_b32 exec_lo, exec_lo, s4
	v_lshrrev_b32_e32 v2, 16, v2
	s_delay_alu instid0(VALU_DEP_1) | instskip(SKIP_4) | instid1(VALU_DEP_2)
	v_and_or_b32 v2, 0xffff0000, v15, v2
	global_atomic_cmpswap_b32 v2, v[0:1], v[2:3], off glc
	s_waitcnt vmcnt(0)
	v_cmp_eq_u32_e64 s1, v2, v3
	v_mov_b32_e32 v3, v2
	s_or_b32 s3, s1, s3
	s_delay_alu instid0(SALU_CYCLE_1)
	s_and_not1_b32 exec_lo, exec_lo, s3
	s_cbranch_execz .LBB8_151
.LBB8_143:                              ; =>This Inner Loop Header: Depth=1
	s_waitcnt vmcnt(0)
	v_lshlrev_b32_e32 v2, 16, v3
	s_delay_alu instid0(VALU_DEP_1) | instskip(NEXT) | instid1(VALU_DEP_1)
	v_add_f32_e32 v10, v4, v2
	v_and_b32_e32 v2, 0x7f800000, v10
	s_delay_alu instid0(VALU_DEP_1) | instskip(NEXT) | instid1(VALU_DEP_1)
	v_cmp_ne_u32_e64 s1, 0x7f800000, v2
                                        ; implicit-def: $vgpr2
	s_and_saveexec_b32 s4, s1
	s_delay_alu instid0(SALU_CYCLE_1)
	s_xor_b32 s1, exec_lo, s4
; %bb.144:                              ;   in Loop: Header=BB8_143 Depth=1
	v_bfe_u32 v2, v10, 16, 1
	s_delay_alu instid0(VALU_DEP_1)
	v_add3_u32 v2, v10, v2, 0x7fff
                                        ; implicit-def: $vgpr10
; %bb.145:                              ;   in Loop: Header=BB8_143 Depth=1
	s_and_not1_saveexec_b32 s4, s1
; %bb.146:                              ;   in Loop: Header=BB8_143 Depth=1
	v_and_b32_e32 v2, 0xffff, v10
	v_or_b32_e32 v15, 0x10000, v10
	s_delay_alu instid0(VALU_DEP_2) | instskip(NEXT) | instid1(VALU_DEP_1)
	v_cmp_eq_u32_e64 s1, 0, v2
	v_cndmask_b32_e64 v2, v15, v10, s1
; %bb.147:                              ;   in Loop: Header=BB8_143 Depth=1
	s_or_b32 exec_lo, exec_lo, s4
	v_and_b32_e32 v10, 0xffff0000, v3
	s_delay_alu instid0(VALU_DEP_1) | instskip(NEXT) | instid1(VALU_DEP_1)
	v_add_f32_e32 v10, v9, v10
	v_and_b32_e32 v15, 0x7f800000, v10
	s_delay_alu instid0(VALU_DEP_1) | instskip(NEXT) | instid1(VALU_DEP_1)
	v_cmp_ne_u32_e64 s1, 0x7f800000, v15
                                        ; implicit-def: $vgpr15
	s_and_saveexec_b32 s4, s1
	s_delay_alu instid0(SALU_CYCLE_1)
	s_xor_b32 s1, exec_lo, s4
; %bb.148:                              ;   in Loop: Header=BB8_143 Depth=1
	v_bfe_u32 v15, v10, 16, 1
	s_delay_alu instid0(VALU_DEP_1)
	v_add3_u32 v15, v10, v15, 0x7fff
                                        ; implicit-def: $vgpr10
; %bb.149:                              ;   in Loop: Header=BB8_143 Depth=1
	s_and_not1_saveexec_b32 s4, s1
	s_cbranch_execz .LBB8_142
; %bb.150:                              ;   in Loop: Header=BB8_143 Depth=1
	v_and_b32_e32 v15, 0xffff, v10
	v_or_b32_e32 v16, 0x10000, v10
	s_delay_alu instid0(VALU_DEP_2) | instskip(NEXT) | instid1(VALU_DEP_1)
	v_cmp_eq_u32_e64 s1, 0, v15
	v_cndmask_b32_e64 v15, v16, v10, s1
	s_branch .LBB8_142
.LBB8_151:
	s_or_b32 exec_lo, exec_lo, s2
	s_waitcnt lgkmcnt(0)
	ds_bpermute_b32 v1, v14, v5
	s_and_saveexec_b32 s2, s0
	s_cbranch_execz .LBB8_171
; %bb.152:
	v_add3_u32 v0, v11, v21, 8
	s_delay_alu instid0(VALU_DEP_1) | instskip(NEXT) | instid1(VALU_DEP_1)
	v_cmp_gt_i32_e64 s1, s20, v0
	s_and_b32 s1, s1, vcc_lo
	s_delay_alu instid0(SALU_CYCLE_1)
	s_and_b32 exec_lo, exec_lo, s1
	s_cbranch_execz .LBB8_171
; %bb.153:
	v_and_b32_e32 v2, 0x7f800000, v5
	s_delay_alu instid0(VALU_DEP_1) | instskip(NEXT) | instid1(VALU_DEP_1)
	v_cmp_ne_u32_e64 s1, 0x7f800000, v2
                                        ; implicit-def: $vgpr2
	s_and_saveexec_b32 s3, s1
	s_delay_alu instid0(SALU_CYCLE_1)
	s_xor_b32 s1, exec_lo, s3
; %bb.154:
	v_bfe_u32 v2, v5, 16, 1
	s_delay_alu instid0(VALU_DEP_1)
	v_add3_u32 v2, v5, v2, 0x7fff
; %bb.155:
	s_and_not1_saveexec_b32 s3, s1
; %bb.156:
	v_and_b32_e32 v2, 0xffff, v5
	v_or_b32_e32 v3, 0x10000, v5
	s_delay_alu instid0(VALU_DEP_2) | instskip(NEXT) | instid1(VALU_DEP_1)
	v_cmp_eq_u32_e64 s1, 0, v2
	v_cndmask_b32_e64 v2, v3, v5, s1
; %bb.157:
	s_or_b32 exec_lo, exec_lo, s3
	s_waitcnt lgkmcnt(0)
	v_and_b32_e32 v3, 0x7f800000, v1
                                        ; implicit-def: $vgpr5
	s_delay_alu instid0(VALU_DEP_1) | instskip(NEXT) | instid1(VALU_DEP_1)
	v_cmp_ne_u32_e64 s1, 0x7f800000, v3
	s_and_saveexec_b32 s3, s1
	s_delay_alu instid0(SALU_CYCLE_1)
	s_xor_b32 s1, exec_lo, s3
; %bb.158:
	v_bfe_u32 v3, v1, 16, 1
	s_delay_alu instid0(VALU_DEP_1)
	v_add3_u32 v5, v1, v3, 0x7fff
                                        ; implicit-def: $vgpr1
; %bb.159:
	s_and_not1_saveexec_b32 s3, s1
; %bb.160:
	v_and_b32_e32 v3, 0xffff, v1
	v_or_b32_e32 v4, 0x10000, v1
	s_delay_alu instid0(VALU_DEP_2) | instskip(NEXT) | instid1(VALU_DEP_1)
	v_cmp_eq_u32_e64 s1, 0, v3
	v_cndmask_b32_e64 v5, v4, v1, s1
; %bb.161:
	s_or_b32 exec_lo, exec_lo, s3
	v_mul_lo_u32 v0, v0, s21
	v_and_b32_e32 v4, 0xffff0000, v2
	s_delay_alu instid0(VALU_DEP_3) | instskip(SKIP_1) | instid1(VALU_DEP_3)
	v_and_b32_e32 v5, 0xffff0000, v5
	s_mov_b32 s3, 0
	v_ashrrev_i32_e32 v1, 31, v0
	s_delay_alu instid0(VALU_DEP_1) | instskip(NEXT) | instid1(VALU_DEP_1)
	v_lshlrev_b64 v[0:1], 1, v[0:1]
	v_add_co_u32 v0, s1, v12, v0
	s_delay_alu instid0(VALU_DEP_1)
	v_add_co_ci_u32_e64 v1, s1, v13, v1, s1
	global_load_b32 v3, v[0:1], off
	s_branch .LBB8_163
.LBB8_162:                              ;   in Loop: Header=BB8_163 Depth=1
	s_or_b32 exec_lo, exec_lo, s4
	v_lshrrev_b32_e32 v2, 16, v2
	s_delay_alu instid0(VALU_DEP_1) | instskip(SKIP_4) | instid1(VALU_DEP_2)
	v_and_or_b32 v2, 0xffff0000, v10, v2
	global_atomic_cmpswap_b32 v2, v[0:1], v[2:3], off glc
	s_waitcnt vmcnt(0)
	v_cmp_eq_u32_e64 s1, v2, v3
	v_mov_b32_e32 v3, v2
	s_or_b32 s3, s1, s3
	s_delay_alu instid0(SALU_CYCLE_1)
	s_and_not1_b32 exec_lo, exec_lo, s3
	s_cbranch_execz .LBB8_171
.LBB8_163:                              ; =>This Inner Loop Header: Depth=1
	s_waitcnt vmcnt(0)
	v_lshlrev_b32_e32 v2, 16, v3
	s_delay_alu instid0(VALU_DEP_1) | instskip(NEXT) | instid1(VALU_DEP_1)
	v_add_f32_e32 v9, v4, v2
	v_and_b32_e32 v2, 0x7f800000, v9
	s_delay_alu instid0(VALU_DEP_1) | instskip(NEXT) | instid1(VALU_DEP_1)
	v_cmp_ne_u32_e64 s1, 0x7f800000, v2
                                        ; implicit-def: $vgpr2
	s_and_saveexec_b32 s4, s1
	s_delay_alu instid0(SALU_CYCLE_1)
	s_xor_b32 s1, exec_lo, s4
; %bb.164:                              ;   in Loop: Header=BB8_163 Depth=1
	v_bfe_u32 v2, v9, 16, 1
	s_delay_alu instid0(VALU_DEP_1)
	v_add3_u32 v2, v9, v2, 0x7fff
                                        ; implicit-def: $vgpr9
; %bb.165:                              ;   in Loop: Header=BB8_163 Depth=1
	s_and_not1_saveexec_b32 s4, s1
; %bb.166:                              ;   in Loop: Header=BB8_163 Depth=1
	v_and_b32_e32 v2, 0xffff, v9
	v_or_b32_e32 v10, 0x10000, v9
	s_delay_alu instid0(VALU_DEP_2) | instskip(NEXT) | instid1(VALU_DEP_1)
	v_cmp_eq_u32_e64 s1, 0, v2
	v_cndmask_b32_e64 v2, v10, v9, s1
; %bb.167:                              ;   in Loop: Header=BB8_163 Depth=1
	s_or_b32 exec_lo, exec_lo, s4
	v_and_b32_e32 v9, 0xffff0000, v3
	s_delay_alu instid0(VALU_DEP_1) | instskip(NEXT) | instid1(VALU_DEP_1)
	v_add_f32_e32 v9, v5, v9
	v_and_b32_e32 v10, 0x7f800000, v9
	s_delay_alu instid0(VALU_DEP_1) | instskip(NEXT) | instid1(VALU_DEP_1)
	v_cmp_ne_u32_e64 s1, 0x7f800000, v10
                                        ; implicit-def: $vgpr10
	s_and_saveexec_b32 s4, s1
	s_delay_alu instid0(SALU_CYCLE_1)
	s_xor_b32 s1, exec_lo, s4
; %bb.168:                              ;   in Loop: Header=BB8_163 Depth=1
	v_bfe_u32 v10, v9, 16, 1
	s_delay_alu instid0(VALU_DEP_1)
	v_add3_u32 v10, v9, v10, 0x7fff
                                        ; implicit-def: $vgpr9
; %bb.169:                              ;   in Loop: Header=BB8_163 Depth=1
	s_and_not1_saveexec_b32 s4, s1
	s_cbranch_execz .LBB8_162
; %bb.170:                              ;   in Loop: Header=BB8_163 Depth=1
	v_and_b32_e32 v10, 0xffff, v9
	v_or_b32_e32 v15, 0x10000, v9
	s_delay_alu instid0(VALU_DEP_2) | instskip(NEXT) | instid1(VALU_DEP_1)
	v_cmp_eq_u32_e64 s1, 0, v10
	v_cndmask_b32_e64 v10, v15, v9, s1
	s_branch .LBB8_162
.LBB8_171:
	s_or_b32 exec_lo, exec_lo, s2
	s_waitcnt lgkmcnt(0)
	ds_bpermute_b32 v1, v14, v6
	s_and_saveexec_b32 s2, s0
	s_cbranch_execz .LBB8_191
; %bb.172:
	v_add3_u32 v0, v11, v21, 10
	s_delay_alu instid0(VALU_DEP_1) | instskip(NEXT) | instid1(VALU_DEP_1)
	v_cmp_gt_i32_e64 s1, s20, v0
	s_and_b32 s1, s1, vcc_lo
	s_delay_alu instid0(SALU_CYCLE_1)
	s_and_b32 exec_lo, exec_lo, s1
	s_cbranch_execz .LBB8_191
; %bb.173:
	v_and_b32_e32 v2, 0x7f800000, v6
	s_delay_alu instid0(VALU_DEP_1) | instskip(NEXT) | instid1(VALU_DEP_1)
	v_cmp_ne_u32_e64 s1, 0x7f800000, v2
                                        ; implicit-def: $vgpr2
	s_and_saveexec_b32 s3, s1
	s_delay_alu instid0(SALU_CYCLE_1)
	s_xor_b32 s1, exec_lo, s3
; %bb.174:
	v_bfe_u32 v2, v6, 16, 1
	s_delay_alu instid0(VALU_DEP_1)
	v_add3_u32 v2, v6, v2, 0x7fff
; %bb.175:
	s_and_not1_saveexec_b32 s3, s1
; %bb.176:
	v_and_b32_e32 v2, 0xffff, v6
	v_or_b32_e32 v3, 0x10000, v6
	s_delay_alu instid0(VALU_DEP_2) | instskip(NEXT) | instid1(VALU_DEP_1)
	v_cmp_eq_u32_e64 s1, 0, v2
	v_cndmask_b32_e64 v2, v3, v6, s1
; %bb.177:
	s_or_b32 exec_lo, exec_lo, s3
	s_waitcnt lgkmcnt(0)
	v_and_b32_e32 v3, 0x7f800000, v1
                                        ; implicit-def: $vgpr5
	s_delay_alu instid0(VALU_DEP_1) | instskip(NEXT) | instid1(VALU_DEP_1)
	v_cmp_ne_u32_e64 s1, 0x7f800000, v3
	s_and_saveexec_b32 s3, s1
	s_delay_alu instid0(SALU_CYCLE_1)
	s_xor_b32 s1, exec_lo, s3
; %bb.178:
	v_bfe_u32 v3, v1, 16, 1
	s_delay_alu instid0(VALU_DEP_1)
	v_add3_u32 v5, v1, v3, 0x7fff
                                        ; implicit-def: $vgpr1
; %bb.179:
	s_and_not1_saveexec_b32 s3, s1
; %bb.180:
	v_and_b32_e32 v3, 0xffff, v1
	v_or_b32_e32 v4, 0x10000, v1
	s_delay_alu instid0(VALU_DEP_2) | instskip(NEXT) | instid1(VALU_DEP_1)
	v_cmp_eq_u32_e64 s1, 0, v3
	v_cndmask_b32_e64 v5, v4, v1, s1
; %bb.181:
	s_or_b32 exec_lo, exec_lo, s3
	v_mul_lo_u32 v0, v0, s21
	v_and_b32_e32 v4, 0xffff0000, v2
	s_delay_alu instid0(VALU_DEP_3) | instskip(SKIP_1) | instid1(VALU_DEP_3)
	v_and_b32_e32 v5, 0xffff0000, v5
	s_mov_b32 s3, 0
	v_ashrrev_i32_e32 v1, 31, v0
	s_delay_alu instid0(VALU_DEP_1) | instskip(NEXT) | instid1(VALU_DEP_1)
	v_lshlrev_b64 v[0:1], 1, v[0:1]
	v_add_co_u32 v0, s1, v12, v0
	s_delay_alu instid0(VALU_DEP_1)
	v_add_co_ci_u32_e64 v1, s1, v13, v1, s1
	global_load_b32 v3, v[0:1], off
	s_branch .LBB8_183
.LBB8_182:                              ;   in Loop: Header=BB8_183 Depth=1
	s_or_b32 exec_lo, exec_lo, s4
	v_lshrrev_b32_e32 v2, 16, v2
	s_delay_alu instid0(VALU_DEP_1) | instskip(SKIP_4) | instid1(VALU_DEP_2)
	v_and_or_b32 v2, 0xffff0000, v9, v2
	global_atomic_cmpswap_b32 v2, v[0:1], v[2:3], off glc
	s_waitcnt vmcnt(0)
	v_cmp_eq_u32_e64 s1, v2, v3
	v_mov_b32_e32 v3, v2
	s_or_b32 s3, s1, s3
	s_delay_alu instid0(SALU_CYCLE_1)
	s_and_not1_b32 exec_lo, exec_lo, s3
	s_cbranch_execz .LBB8_191
.LBB8_183:                              ; =>This Inner Loop Header: Depth=1
	s_waitcnt vmcnt(0)
	v_lshlrev_b32_e32 v2, 16, v3
	s_delay_alu instid0(VALU_DEP_1) | instskip(NEXT) | instid1(VALU_DEP_1)
	v_add_f32_e32 v6, v4, v2
	v_and_b32_e32 v2, 0x7f800000, v6
	s_delay_alu instid0(VALU_DEP_1) | instskip(NEXT) | instid1(VALU_DEP_1)
	v_cmp_ne_u32_e64 s1, 0x7f800000, v2
                                        ; implicit-def: $vgpr2
	s_and_saveexec_b32 s4, s1
	s_delay_alu instid0(SALU_CYCLE_1)
	s_xor_b32 s1, exec_lo, s4
; %bb.184:                              ;   in Loop: Header=BB8_183 Depth=1
	v_bfe_u32 v2, v6, 16, 1
	s_delay_alu instid0(VALU_DEP_1)
	v_add3_u32 v2, v6, v2, 0x7fff
                                        ; implicit-def: $vgpr6
; %bb.185:                              ;   in Loop: Header=BB8_183 Depth=1
	s_and_not1_saveexec_b32 s4, s1
; %bb.186:                              ;   in Loop: Header=BB8_183 Depth=1
	v_and_b32_e32 v2, 0xffff, v6
	v_or_b32_e32 v9, 0x10000, v6
	s_delay_alu instid0(VALU_DEP_2) | instskip(NEXT) | instid1(VALU_DEP_1)
	v_cmp_eq_u32_e64 s1, 0, v2
	v_cndmask_b32_e64 v2, v9, v6, s1
; %bb.187:                              ;   in Loop: Header=BB8_183 Depth=1
	s_or_b32 exec_lo, exec_lo, s4
	v_and_b32_e32 v6, 0xffff0000, v3
	s_delay_alu instid0(VALU_DEP_1) | instskip(NEXT) | instid1(VALU_DEP_1)
	v_add_f32_e32 v6, v5, v6
	v_and_b32_e32 v9, 0x7f800000, v6
	s_delay_alu instid0(VALU_DEP_1) | instskip(NEXT) | instid1(VALU_DEP_1)
	v_cmp_ne_u32_e64 s1, 0x7f800000, v9
                                        ; implicit-def: $vgpr9
	s_and_saveexec_b32 s4, s1
	s_delay_alu instid0(SALU_CYCLE_1)
	s_xor_b32 s1, exec_lo, s4
; %bb.188:                              ;   in Loop: Header=BB8_183 Depth=1
	v_bfe_u32 v9, v6, 16, 1
	s_delay_alu instid0(VALU_DEP_1)
	v_add3_u32 v9, v6, v9, 0x7fff
                                        ; implicit-def: $vgpr6
; %bb.189:                              ;   in Loop: Header=BB8_183 Depth=1
	s_and_not1_saveexec_b32 s4, s1
	s_cbranch_execz .LBB8_182
; %bb.190:                              ;   in Loop: Header=BB8_183 Depth=1
	v_and_b32_e32 v9, 0xffff, v6
	v_or_b32_e32 v10, 0x10000, v6
	s_delay_alu instid0(VALU_DEP_2) | instskip(NEXT) | instid1(VALU_DEP_1)
	v_cmp_eq_u32_e64 s1, 0, v9
	v_cndmask_b32_e64 v9, v10, v6, s1
	s_branch .LBB8_182
.LBB8_191:
	s_or_b32 exec_lo, exec_lo, s2
	s_waitcnt lgkmcnt(0)
	ds_bpermute_b32 v1, v14, v7
	s_and_saveexec_b32 s2, s0
	s_cbranch_execz .LBB8_211
; %bb.192:
	v_add3_u32 v0, v11, v21, 12
	s_delay_alu instid0(VALU_DEP_1) | instskip(NEXT) | instid1(VALU_DEP_1)
	v_cmp_gt_i32_e64 s1, s20, v0
	s_and_b32 s1, s1, vcc_lo
	s_delay_alu instid0(SALU_CYCLE_1)
	s_and_b32 exec_lo, exec_lo, s1
	s_cbranch_execz .LBB8_211
; %bb.193:
	v_and_b32_e32 v2, 0x7f800000, v7
	s_delay_alu instid0(VALU_DEP_1) | instskip(NEXT) | instid1(VALU_DEP_1)
	v_cmp_ne_u32_e64 s1, 0x7f800000, v2
                                        ; implicit-def: $vgpr2
	s_and_saveexec_b32 s3, s1
	s_delay_alu instid0(SALU_CYCLE_1)
	s_xor_b32 s1, exec_lo, s3
; %bb.194:
	v_bfe_u32 v2, v7, 16, 1
	s_delay_alu instid0(VALU_DEP_1)
	v_add3_u32 v2, v7, v2, 0x7fff
; %bb.195:
	s_and_not1_saveexec_b32 s3, s1
; %bb.196:
	v_and_b32_e32 v2, 0xffff, v7
	v_or_b32_e32 v3, 0x10000, v7
	s_delay_alu instid0(VALU_DEP_2) | instskip(NEXT) | instid1(VALU_DEP_1)
	v_cmp_eq_u32_e64 s1, 0, v2
	v_cndmask_b32_e64 v2, v3, v7, s1
; %bb.197:
	s_or_b32 exec_lo, exec_lo, s3
	s_waitcnt lgkmcnt(0)
	v_and_b32_e32 v3, 0x7f800000, v1
                                        ; implicit-def: $vgpr5
	s_delay_alu instid0(VALU_DEP_1) | instskip(NEXT) | instid1(VALU_DEP_1)
	v_cmp_ne_u32_e64 s1, 0x7f800000, v3
	s_and_saveexec_b32 s3, s1
	s_delay_alu instid0(SALU_CYCLE_1)
	s_xor_b32 s1, exec_lo, s3
; %bb.198:
	v_bfe_u32 v3, v1, 16, 1
	s_delay_alu instid0(VALU_DEP_1)
	v_add3_u32 v5, v1, v3, 0x7fff
                                        ; implicit-def: $vgpr1
; %bb.199:
	s_and_not1_saveexec_b32 s3, s1
; %bb.200:
	v_and_b32_e32 v3, 0xffff, v1
	v_or_b32_e32 v4, 0x10000, v1
	s_delay_alu instid0(VALU_DEP_2) | instskip(NEXT) | instid1(VALU_DEP_1)
	v_cmp_eq_u32_e64 s1, 0, v3
	v_cndmask_b32_e64 v5, v4, v1, s1
; %bb.201:
	s_or_b32 exec_lo, exec_lo, s3
	v_mul_lo_u32 v0, v0, s21
	v_and_b32_e32 v4, 0xffff0000, v2
	s_delay_alu instid0(VALU_DEP_3) | instskip(SKIP_1) | instid1(VALU_DEP_3)
	v_and_b32_e32 v5, 0xffff0000, v5
	s_mov_b32 s3, 0
	v_ashrrev_i32_e32 v1, 31, v0
	s_delay_alu instid0(VALU_DEP_1) | instskip(NEXT) | instid1(VALU_DEP_1)
	v_lshlrev_b64 v[0:1], 1, v[0:1]
	v_add_co_u32 v0, s1, v12, v0
	s_delay_alu instid0(VALU_DEP_1)
	v_add_co_ci_u32_e64 v1, s1, v13, v1, s1
	global_load_b32 v3, v[0:1], off
	s_branch .LBB8_203
.LBB8_202:                              ;   in Loop: Header=BB8_203 Depth=1
	s_or_b32 exec_lo, exec_lo, s4
	v_lshrrev_b32_e32 v2, 16, v2
	s_delay_alu instid0(VALU_DEP_1) | instskip(SKIP_4) | instid1(VALU_DEP_2)
	v_and_or_b32 v2, 0xffff0000, v7, v2
	global_atomic_cmpswap_b32 v2, v[0:1], v[2:3], off glc
	s_waitcnt vmcnt(0)
	v_cmp_eq_u32_e64 s1, v2, v3
	v_mov_b32_e32 v3, v2
	s_or_b32 s3, s1, s3
	s_delay_alu instid0(SALU_CYCLE_1)
	s_and_not1_b32 exec_lo, exec_lo, s3
	s_cbranch_execz .LBB8_211
.LBB8_203:                              ; =>This Inner Loop Header: Depth=1
	s_waitcnt vmcnt(0)
	v_lshlrev_b32_e32 v2, 16, v3
	s_delay_alu instid0(VALU_DEP_1) | instskip(NEXT) | instid1(VALU_DEP_1)
	v_add_f32_e32 v6, v4, v2
	v_and_b32_e32 v2, 0x7f800000, v6
	s_delay_alu instid0(VALU_DEP_1) | instskip(NEXT) | instid1(VALU_DEP_1)
	v_cmp_ne_u32_e64 s1, 0x7f800000, v2
                                        ; implicit-def: $vgpr2
	s_and_saveexec_b32 s4, s1
	s_delay_alu instid0(SALU_CYCLE_1)
	s_xor_b32 s1, exec_lo, s4
; %bb.204:                              ;   in Loop: Header=BB8_203 Depth=1
	v_bfe_u32 v2, v6, 16, 1
	s_delay_alu instid0(VALU_DEP_1)
	v_add3_u32 v2, v6, v2, 0x7fff
                                        ; implicit-def: $vgpr6
; %bb.205:                              ;   in Loop: Header=BB8_203 Depth=1
	s_and_not1_saveexec_b32 s4, s1
; %bb.206:                              ;   in Loop: Header=BB8_203 Depth=1
	v_and_b32_e32 v2, 0xffff, v6
	v_or_b32_e32 v7, 0x10000, v6
	s_delay_alu instid0(VALU_DEP_2) | instskip(NEXT) | instid1(VALU_DEP_1)
	v_cmp_eq_u32_e64 s1, 0, v2
	v_cndmask_b32_e64 v2, v7, v6, s1
; %bb.207:                              ;   in Loop: Header=BB8_203 Depth=1
	s_or_b32 exec_lo, exec_lo, s4
	v_and_b32_e32 v6, 0xffff0000, v3
	s_delay_alu instid0(VALU_DEP_1) | instskip(NEXT) | instid1(VALU_DEP_1)
	v_add_f32_e32 v6, v5, v6
	v_and_b32_e32 v7, 0x7f800000, v6
	s_delay_alu instid0(VALU_DEP_1) | instskip(NEXT) | instid1(VALU_DEP_1)
	v_cmp_ne_u32_e64 s1, 0x7f800000, v7
                                        ; implicit-def: $vgpr7
	s_and_saveexec_b32 s4, s1
	s_delay_alu instid0(SALU_CYCLE_1)
	s_xor_b32 s1, exec_lo, s4
; %bb.208:                              ;   in Loop: Header=BB8_203 Depth=1
	v_bfe_u32 v7, v6, 16, 1
	s_delay_alu instid0(VALU_DEP_1)
	v_add3_u32 v7, v6, v7, 0x7fff
                                        ; implicit-def: $vgpr6
; %bb.209:                              ;   in Loop: Header=BB8_203 Depth=1
	s_and_not1_saveexec_b32 s4, s1
	s_cbranch_execz .LBB8_202
; %bb.210:                              ;   in Loop: Header=BB8_203 Depth=1
	v_and_b32_e32 v7, 0xffff, v6
	v_or_b32_e32 v9, 0x10000, v6
	s_delay_alu instid0(VALU_DEP_2) | instskip(NEXT) | instid1(VALU_DEP_1)
	v_cmp_eq_u32_e64 s1, 0, v7
	v_cndmask_b32_e64 v7, v9, v6, s1
	s_branch .LBB8_202
.LBB8_211:
	s_or_b32 exec_lo, exec_lo, s2
	ds_bpermute_b32 v9, v14, v8
	s_and_saveexec_b32 s1, s0
	s_cbranch_execz .LBB8_231
; %bb.212:
	v_add3_u32 v0, v11, v21, 14
	s_delay_alu instid0(VALU_DEP_1) | instskip(NEXT) | instid1(VALU_DEP_1)
	v_cmp_gt_i32_e64 s0, s20, v0
	s_and_b32 s0, s0, vcc_lo
	s_delay_alu instid0(SALU_CYCLE_1)
	s_and_b32 exec_lo, exec_lo, s0
	s_cbranch_execz .LBB8_231
; %bb.213:
	s_waitcnt lgkmcnt(1)
	v_and_b32_e32 v1, 0x7f800000, v8
	s_mov_b32 s0, exec_lo
                                        ; implicit-def: $vgpr10
	s_delay_alu instid0(VALU_DEP_1)
	v_cmpx_ne_u32_e32 0x7f800000, v1
	s_xor_b32 s0, exec_lo, s0
; %bb.214:
	v_bfe_u32 v1, v8, 16, 1
	s_delay_alu instid0(VALU_DEP_1)
	v_add3_u32 v10, v8, v1, 0x7fff
                                        ; implicit-def: $vgpr1_vgpr2_vgpr3_vgpr4_vgpr5_vgpr6_vgpr7_vgpr8
; %bb.215:
	s_and_not1_saveexec_b32 s0, s0
; %bb.216:
	v_and_b32_e32 v1, 0xffff, v8
	v_or_b32_e32 v2, 0x10000, v8
	s_delay_alu instid0(VALU_DEP_2) | instskip(NEXT) | instid1(VALU_DEP_2)
	v_cmp_eq_u32_e32 vcc_lo, 0, v1
	v_cndmask_b32_e32 v10, v2, v8, vcc_lo
; %bb.217:
	s_or_b32 exec_lo, exec_lo, s0
	s_waitcnt lgkmcnt(0)
	v_and_b32_e32 v1, 0x7f800000, v9
	s_mov_b32 s0, exec_lo
                                        ; implicit-def: $vgpr2
	s_delay_alu instid0(VALU_DEP_1)
	v_cmpx_ne_u32_e32 0x7f800000, v1
	s_xor_b32 s0, exec_lo, s0
; %bb.218:
	v_bfe_u32 v1, v9, 16, 1
	s_delay_alu instid0(VALU_DEP_1)
	v_add3_u32 v2, v9, v1, 0x7fff
                                        ; implicit-def: $vgpr9
; %bb.219:
	s_and_not1_saveexec_b32 s0, s0
; %bb.220:
	v_and_b32_e32 v1, 0xffff, v9
	v_or_b32_e32 v2, 0x10000, v9
	s_delay_alu instid0(VALU_DEP_2) | instskip(NEXT) | instid1(VALU_DEP_2)
	v_cmp_eq_u32_e32 vcc_lo, 0, v1
	v_cndmask_b32_e32 v2, v2, v9, vcc_lo
; %bb.221:
	s_or_b32 exec_lo, exec_lo, s0
	v_mul_lo_u32 v0, v0, s21
	v_and_b32_e32 v4, 0xffff0000, v10
	s_delay_alu instid0(VALU_DEP_3) | instskip(SKIP_1) | instid1(VALU_DEP_3)
	v_and_b32_e32 v5, 0xffff0000, v2
	s_mov_b32 s0, 0
	v_ashrrev_i32_e32 v1, 31, v0
	s_delay_alu instid0(VALU_DEP_1) | instskip(NEXT) | instid1(VALU_DEP_1)
	v_lshlrev_b64 v[0:1], 1, v[0:1]
	v_add_co_u32 v0, vcc_lo, v12, v0
	s_delay_alu instid0(VALU_DEP_2)
	v_add_co_ci_u32_e32 v1, vcc_lo, v13, v1, vcc_lo
	global_load_b32 v3, v[0:1], off
	s_branch .LBB8_223
.LBB8_222:                              ;   in Loop: Header=BB8_223 Depth=1
	s_or_b32 exec_lo, exec_lo, s1
	v_lshrrev_b32_e32 v2, 16, v2
	s_delay_alu instid0(VALU_DEP_1)
	v_and_or_b32 v2, 0xffff0000, v7, v2
	global_atomic_cmpswap_b32 v2, v[0:1], v[2:3], off glc
	s_waitcnt vmcnt(0)
	v_cmp_eq_u32_e32 vcc_lo, v2, v3
	v_mov_b32_e32 v3, v2
	s_or_b32 s0, vcc_lo, s0
	s_delay_alu instid0(SALU_CYCLE_1)
	s_and_not1_b32 exec_lo, exec_lo, s0
	s_cbranch_execz .LBB8_231
.LBB8_223:                              ; =>This Inner Loop Header: Depth=1
	s_waitcnt vmcnt(0)
	v_lshlrev_b32_e32 v2, 16, v3
	s_delay_alu instid0(VALU_DEP_1) | instskip(NEXT) | instid1(VALU_DEP_1)
	v_add_f32_e32 v6, v4, v2
	v_and_b32_e32 v2, 0x7f800000, v6
	s_delay_alu instid0(VALU_DEP_1) | instskip(SKIP_1) | instid1(SALU_CYCLE_1)
	v_cmp_ne_u32_e32 vcc_lo, 0x7f800000, v2
                                        ; implicit-def: $vgpr2
	s_and_saveexec_b32 s1, vcc_lo
	s_xor_b32 s1, exec_lo, s1
; %bb.224:                              ;   in Loop: Header=BB8_223 Depth=1
	v_bfe_u32 v2, v6, 16, 1
	s_delay_alu instid0(VALU_DEP_1)
	v_add3_u32 v2, v6, v2, 0x7fff
                                        ; implicit-def: $vgpr6
; %bb.225:                              ;   in Loop: Header=BB8_223 Depth=1
	s_and_not1_saveexec_b32 s1, s1
; %bb.226:                              ;   in Loop: Header=BB8_223 Depth=1
	v_and_b32_e32 v2, 0xffff, v6
	v_or_b32_e32 v7, 0x10000, v6
	s_delay_alu instid0(VALU_DEP_2) | instskip(NEXT) | instid1(VALU_DEP_2)
	v_cmp_eq_u32_e32 vcc_lo, 0, v2
	v_cndmask_b32_e32 v2, v7, v6, vcc_lo
; %bb.227:                              ;   in Loop: Header=BB8_223 Depth=1
	s_or_b32 exec_lo, exec_lo, s1
	v_and_b32_e32 v6, 0xffff0000, v3
	s_delay_alu instid0(VALU_DEP_1) | instskip(NEXT) | instid1(VALU_DEP_1)
	v_add_f32_e32 v6, v5, v6
	v_and_b32_e32 v7, 0x7f800000, v6
	s_delay_alu instid0(VALU_DEP_1) | instskip(SKIP_1) | instid1(SALU_CYCLE_1)
	v_cmp_ne_u32_e32 vcc_lo, 0x7f800000, v7
                                        ; implicit-def: $vgpr7
	s_and_saveexec_b32 s1, vcc_lo
	s_xor_b32 s1, exec_lo, s1
; %bb.228:                              ;   in Loop: Header=BB8_223 Depth=1
	v_bfe_u32 v7, v6, 16, 1
	s_delay_alu instid0(VALU_DEP_1)
	v_add3_u32 v7, v6, v7, 0x7fff
                                        ; implicit-def: $vgpr6
; %bb.229:                              ;   in Loop: Header=BB8_223 Depth=1
	s_and_not1_saveexec_b32 s1, s1
	s_cbranch_execz .LBB8_222
; %bb.230:                              ;   in Loop: Header=BB8_223 Depth=1
	v_and_b32_e32 v7, 0xffff, v6
	v_or_b32_e32 v8, 0x10000, v6
	s_delay_alu instid0(VALU_DEP_2) | instskip(NEXT) | instid1(VALU_DEP_2)
	v_cmp_eq_u32_e32 vcc_lo, 0, v7
	v_cndmask_b32_e32 v7, v8, v6, vcc_lo
	s_branch .LBB8_222
.LBB8_231:
	s_nop 0
	s_sendmsg sendmsg(MSG_DEALLOC_VGPRS)
	s_endpgm
	.section	.rodata,"a",@progbits
	.p2align	6, 0x0
	.amdhsa_kernel _ZN4vllm15gptq_rdna3_wmma28gemm_q4_wmma_kernel_32x16_2wI14__hip_bfloat16EEvPKT_PKjS7_S5_PS3_iiiiiPKi
		.amdhsa_group_segment_fixed_size 1024
		.amdhsa_private_segment_fixed_size 0
		.amdhsa_kernarg_size 328
		.amdhsa_user_sgpr_count 13
		.amdhsa_user_sgpr_dispatch_ptr 0
		.amdhsa_user_sgpr_queue_ptr 0
		.amdhsa_user_sgpr_kernarg_segment_ptr 1
		.amdhsa_user_sgpr_dispatch_id 0
		.amdhsa_user_sgpr_private_segment_size 0
		.amdhsa_wavefront_size32 1
		.amdhsa_uses_dynamic_stack 0
		.amdhsa_enable_private_segment 0
		.amdhsa_system_sgpr_workgroup_id_x 1
		.amdhsa_system_sgpr_workgroup_id_y 1
		.amdhsa_system_sgpr_workgroup_id_z 1
		.amdhsa_system_sgpr_workgroup_info 0
		.amdhsa_system_vgpr_workitem_id 0
		.amdhsa_next_free_vgpr 46
		.amdhsa_next_free_sgpr 50
		.amdhsa_reserve_vcc 1
		.amdhsa_float_round_mode_32 0
		.amdhsa_float_round_mode_16_64 0
		.amdhsa_float_denorm_mode_32 3
		.amdhsa_float_denorm_mode_16_64 3
		.amdhsa_dx10_clamp 1
		.amdhsa_ieee_mode 1
		.amdhsa_fp16_overflow 0
		.amdhsa_workgroup_processor_mode 1
		.amdhsa_memory_ordered 1
		.amdhsa_forward_progress 0
		.amdhsa_shared_vgpr_count 0
		.amdhsa_exception_fp_ieee_invalid_op 0
		.amdhsa_exception_fp_denorm_src 0
		.amdhsa_exception_fp_ieee_div_zero 0
		.amdhsa_exception_fp_ieee_overflow 0
		.amdhsa_exception_fp_ieee_underflow 0
		.amdhsa_exception_fp_ieee_inexact 0
		.amdhsa_exception_int_div_zero 0
	.end_amdhsa_kernel
	.section	.text._ZN4vllm15gptq_rdna3_wmma28gemm_q4_wmma_kernel_32x16_2wI14__hip_bfloat16EEvPKT_PKjS7_S5_PS3_iiiiiPKi,"axG",@progbits,_ZN4vllm15gptq_rdna3_wmma28gemm_q4_wmma_kernel_32x16_2wI14__hip_bfloat16EEvPKT_PKjS7_S5_PS3_iiiiiPKi,comdat
.Lfunc_end8:
	.size	_ZN4vllm15gptq_rdna3_wmma28gemm_q4_wmma_kernel_32x16_2wI14__hip_bfloat16EEvPKT_PKjS7_S5_PS3_iiiiiPKi, .Lfunc_end8-_ZN4vllm15gptq_rdna3_wmma28gemm_q4_wmma_kernel_32x16_2wI14__hip_bfloat16EEvPKT_PKjS7_S5_PS3_iiiiiPKi
                                        ; -- End function
	.section	.AMDGPU.csdata,"",@progbits
; Kernel info:
; codeLenInByte = 10140
; NumSgprs: 52
; NumVgprs: 46
; ScratchSize: 0
; MemoryBound: 1
; FloatMode: 240
; IeeeMode: 1
; LDSByteSize: 1024 bytes/workgroup (compile time only)
; SGPRBlocks: 6
; VGPRBlocks: 5
; NumSGPRsForWavesPerEU: 52
; NumVGPRsForWavesPerEU: 46
; Occupancy: 16
; WaveLimiterHint : 1
; COMPUTE_PGM_RSRC2:SCRATCH_EN: 0
; COMPUTE_PGM_RSRC2:USER_SGPR: 13
; COMPUTE_PGM_RSRC2:TRAP_HANDLER: 0
; COMPUTE_PGM_RSRC2:TGID_X_EN: 1
; COMPUTE_PGM_RSRC2:TGID_Y_EN: 1
; COMPUTE_PGM_RSRC2:TGID_Z_EN: 1
; COMPUTE_PGM_RSRC2:TIDIG_COMP_CNT: 0
	.section	.text._ZN4vllm15gptq_rdna3_wmma28gemm_q4_wmma_kernel_64x16_4wI14__hip_bfloat16EEvPKT_PKjS7_S5_PS3_iiiiiPKi,"axG",@progbits,_ZN4vllm15gptq_rdna3_wmma28gemm_q4_wmma_kernel_64x16_4wI14__hip_bfloat16EEvPKT_PKjS7_S5_PS3_iiiiiPKi,comdat
	.protected	_ZN4vllm15gptq_rdna3_wmma28gemm_q4_wmma_kernel_64x16_4wI14__hip_bfloat16EEvPKT_PKjS7_S5_PS3_iiiiiPKi ; -- Begin function _ZN4vllm15gptq_rdna3_wmma28gemm_q4_wmma_kernel_64x16_4wI14__hip_bfloat16EEvPKT_PKjS7_S5_PS3_iiiiiPKi
	.globl	_ZN4vllm15gptq_rdna3_wmma28gemm_q4_wmma_kernel_64x16_4wI14__hip_bfloat16EEvPKT_PKjS7_S5_PS3_iiiiiPKi
	.p2align	8
	.type	_ZN4vllm15gptq_rdna3_wmma28gemm_q4_wmma_kernel_64x16_4wI14__hip_bfloat16EEvPKT_PKjS7_S5_PS3_iiiiiPKi,@function
_ZN4vllm15gptq_rdna3_wmma28gemm_q4_wmma_kernel_64x16_4wI14__hip_bfloat16EEvPKT_PKjS7_S5_PS3_iiiiiPKi: ; @_ZN4vllm15gptq_rdna3_wmma28gemm_q4_wmma_kernel_64x16_4wI14__hip_bfloat16EEvPKT_PKjS7_S5_PS3_iiiiiPKi
; %bb.0:
	s_load_b128 s[20:23], s[0:1], 0x28
	s_lshl_b32 s6, s14, 6
	s_lshl_b32 s10, s13, 4
	s_waitcnt lgkmcnt(0)
	s_cmp_ge_i32 s6, s20
	s_cselect_b32 s2, -1, 0
	s_cmp_ge_i32 s10, s21
	s_cselect_b32 s3, -1, 0
	s_delay_alu instid0(SALU_CYCLE_1) | instskip(NEXT) | instid1(SALU_CYCLE_1)
	s_or_b32 s2, s2, s3
	s_and_b32 vcc_lo, exec_lo, s2
	s_cbranch_vccnz .LBB9_231
; %bb.1:
	s_abs_i32 s2, s23
	s_clause 0x1
	s_load_b32 s3, s[0:1], 0x50
	s_load_b32 s33, s[0:1], 0x38
	v_cvt_f32_u32_e32 v1, s2
	s_sub_i32 s5, 0, s2
	s_abs_i32 s7, s22
	s_clause 0x1
	s_load_b128 s[24:27], s[0:1], 0x8
	s_load_b64 s[30:31], s[0:1], 0x18
	v_lshrrev_b32_e32 v9, 4, v0
	v_rcp_iflag_f32_e32 v1, v1
	v_bfe_u32 v21, v0, 4, 1
	v_and_b32_e32 v22, 15, v0
	s_delay_alu instid0(VALU_DEP_1) | instskip(SKIP_4) | instid1(VALU_DEP_2)
	v_or_b32_e32 v17, s10, v22
	s_waitcnt_depctr 0xfff
	v_mul_f32_e32 v1, 0x4f7ffffe, v1
	s_waitcnt lgkmcnt(0)
	v_cvt_f32_u32_e32 v2, s3
	v_cvt_u32_f32_e32 v1, v1
	s_delay_alu instid0(VALU_DEP_1) | instskip(NEXT) | instid1(VALU_DEP_3)
	v_readfirstlane_b32 s4, v1
	v_rcp_iflag_f32_e32 v1, v2
	s_delay_alu instid0(VALU_DEP_1) | instskip(NEXT) | instid1(SALU_CYCLE_1)
	s_mul_i32 s5, s5, s4
	s_mul_hi_u32 s5, s4, s5
	s_delay_alu instid0(SALU_CYCLE_1)
	s_add_i32 s4, s4, s5
	s_xor_b32 s5, s22, s23
	s_mul_hi_u32 s4, s7, s4
	s_waitcnt_depctr 0xfff
	v_mul_f32_e32 v1, 0x4f7ffffe, v1
	s_mul_i32 s8, s4, s2
	s_ashr_i32 s5, s5, 31
	s_sub_i32 s7, s7, s8
	s_add_i32 s8, s4, 1
	s_sub_i32 s9, s7, s2
	s_cmp_ge_u32 s7, s2
	v_cvt_u32_f32_e32 v1, v1
	s_cselect_b32 s4, s8, s4
	s_cselect_b32 s7, s9, s7
	s_add_i32 s8, s4, 1
	s_cmp_ge_u32 s7, s2
	v_readfirstlane_b32 s2, v1
	s_cselect_b32 s4, s8, s4
	s_sub_i32 s7, 0, s3
	s_delay_alu instid0(VALU_DEP_1) | instid1(SALU_CYCLE_1)
	s_mul_i32 s7, s7, s2
	s_delay_alu instid0(SALU_CYCLE_1) | instskip(NEXT) | instid1(SALU_CYCLE_1)
	s_mul_hi_u32 s7, s2, s7
	s_add_i32 s2, s2, s7
	s_delay_alu instid0(SALU_CYCLE_1)
	s_mul_hi_u32 s7, s22, s2
	s_xor_b32 s2, s4, s5
	s_mul_i32 s4, s7, s3
	s_sub_i32 s5, s2, s5
	s_sub_i32 s4, s22, s4
	s_add_i32 s8, s7, 1
	s_sub_i32 s9, s4, s3
	s_cmp_ge_u32 s4, s3
	v_cmp_lt_u32_e64 s2, 31, v0
	s_cselect_b32 s7, s8, s7
	s_cselect_b32 s4, s9, s4
	s_add_i32 s8, s7, 1
	s_cmp_ge_u32 s4, s3
	s_cselect_b32 s11, s8, s7
	s_mov_b32 s7, exec_lo
	s_mul_i32 s4, s11, s15
	v_cmpx_gt_u32_e32 32, v0
	s_cbranch_execz .LBB9_4
; %bb.2:
	v_cmp_gt_i32_e32 vcc_lo, s21, v17
	s_and_b32 exec_lo, exec_lo, vcc_lo
	s_cbranch_execz .LBB9_4
; %bb.3:
	s_abs_i32 s8, s5
	s_abs_i32 s14, s4
	v_cvt_f32_u32_e32 v1, s8
	s_sub_i32 s15, 0, s8
	s_ashr_i32 s9, s4, 31
	s_xor_b32 s13, s4, s5
	s_lshr_b32 s9, s9, 29
	v_rcp_iflag_f32_e32 v1, v1
	s_add_i32 s9, s4, s9
	s_ashr_i32 s13, s13, 31
	s_ashr_i32 s9, s9, 3
	s_delay_alu instid0(SALU_CYCLE_1) | instskip(NEXT) | instid1(VALU_DEP_1)
	v_add_nc_u32_e32 v6, s9, v21
	v_mad_u64_u32 v[4:5], null, v6, s21, v[17:18]
	s_waitcnt_depctr 0xfff
	v_mul_f32_e32 v1, 0x4f7ffffe, v1
	s_delay_alu instid0(VALU_DEP_1) | instskip(SKIP_1) | instid1(VALU_DEP_2)
	v_cvt_u32_f32_e32 v1, v1
	v_ashrrev_i32_e32 v5, 31, v4
	v_readfirstlane_b32 s12, v1
	v_ashrrev_i32_e32 v1, 31, v17
	s_delay_alu instid0(VALU_DEP_2) | instskip(NEXT) | instid1(VALU_DEP_1)
	s_mul_i32 s15, s15, s12
	v_lshrrev_b32_e32 v1, 29, v1
	s_mul_hi_u32 s15, s12, s15
	s_delay_alu instid0(SALU_CYCLE_1) | instskip(NEXT) | instid1(SALU_CYCLE_1)
	s_add_i32 s12, s12, s15
	s_mul_hi_u32 s12, s14, s12
	s_delay_alu instid0(VALU_DEP_1) | instskip(SKIP_1) | instid1(SALU_CYCLE_1)
	v_add_nc_u32_e32 v1, v17, v1
	s_mul_i32 s15, s12, s8
	s_sub_i32 s14, s14, s15
	s_add_i32 s15, s12, 1
	s_sub_i32 s16, s14, s8
	s_cmp_ge_u32 s14, s8
	v_ashrrev_i32_e32 v1, 3, v1
	s_cselect_b32 s12, s15, s12
	s_cselect_b32 s14, s16, s14
	s_add_i32 s15, s12, 1
	s_cmp_ge_u32 s14, s8
	s_cselect_b32 s8, s15, s12
	s_ashr_i32 s9, s21, 31
	s_xor_b32 s8, s8, s13
	s_lshr_b32 s9, s9, 29
	s_sub_i32 s8, s8, s13
	s_add_i32 s9, s21, s9
	v_mad_u64_u32 v[6:7], null, s8, s21, v[17:18]
	s_ashr_i32 s9, s9, 3
	s_delay_alu instid0(SALU_CYCLE_1) | instskip(SKIP_1) | instid1(VALU_DEP_2)
	v_mad_u64_u32 v[2:3], null, s8, s9, v[1:2]
	s_mov_b32 s8, 0xf000f
	v_ashrrev_i32_e32 v7, 31, v6
	s_delay_alu instid0(VALU_DEP_2) | instskip(NEXT) | instid1(VALU_DEP_1)
	v_ashrrev_i32_e32 v3, 31, v2
	v_lshlrev_b64 v[1:2], 2, v[2:3]
	v_lshlrev_b64 v[3:4], 2, v[4:5]
	s_delay_alu instid0(VALU_DEP_2) | instskip(NEXT) | instid1(VALU_DEP_3)
	v_add_co_u32 v1, vcc_lo, s26, v1
	v_add_co_ci_u32_e32 v2, vcc_lo, s27, v2, vcc_lo
	s_delay_alu instid0(VALU_DEP_3) | instskip(NEXT) | instid1(VALU_DEP_4)
	v_add_co_u32 v3, vcc_lo, s24, v3
	v_add_co_ci_u32_e32 v4, vcc_lo, s25, v4, vcc_lo
	global_load_b32 v5, v[1:2], off
	v_lshlrev_b64 v[1:2], 1, v[6:7]
	global_load_b32 v3, v[3:4], off
	v_lshlrev_b32_e32 v4, 1, v22
	v_add_co_u32 v1, vcc_lo, s30, v1
	v_add_co_ci_u32_e32 v2, vcc_lo, s31, v2, vcc_lo
	s_delay_alu instid0(VALU_DEP_3) | instskip(SKIP_2) | instid1(VALU_DEP_1)
	v_lshl_or_b32 v4, v9, 8, v4
	global_load_u16 v1, v[1:2], off
	v_lshlrev_b32_e32 v2, 2, v0
	v_and_b32_e32 v2, 28, v2
	s_waitcnt vmcnt(2)
	s_delay_alu instid0(VALU_DEP_1) | instskip(SKIP_3) | instid1(VALU_DEP_3)
	v_bfe_u32 v2, v5, v2, 4
	s_waitcnt vmcnt(1)
	v_lshrrev_b32_e32 v7, 12, v3
	v_lshrrev_b32_e32 v5, 4, v3
	v_add_nc_u32_e32 v2, s33, v2
	v_lshrrev_b32_e32 v6, 8, v3
	v_and_or_b32 v3, v3, s8, 0x43004300
	v_and_or_b32 v7, v7, s8, 0x43004300
	;; [unrolled: 1-line block ×3, first 2 shown]
	v_cvt_f32_u32_e32 v2, v2
	v_and_or_b32 v6, v6, s8, 0x43004300
	v_lshlrev_b32_e32 v8, 16, v3
	v_lshlrev_b32_e32 v12, 16, v7
	s_waitcnt vmcnt(0)
	v_dual_add_f32 v2, 0x43000000, v2 :: v_dual_lshlrev_b32 v1, 16, v1
	v_and_b32_e32 v7, 0x430f0000, v7
	v_lshlrev_b32_e32 v10, 16, v5
	v_and_b32_e32 v5, 0x430f0000, v5
	v_lshlrev_b32_e32 v11, 16, v6
	v_mul_f32_e64 v2, v1, -v2
	v_and_b32_e32 v3, 0x430f0000, v3
	v_and_b32_e32 v6, 0x430f0000, v6
	s_delay_alu instid0(VALU_DEP_3) | instskip(NEXT) | instid1(VALU_DEP_3)
	v_fma_f32 v8, v8, v1, v2
	v_fma_f32 v3, v3, v1, v2
	;; [unrolled: 1-line block ×7, first 2 shown]
	v_fmac_f32_e32 v2, v7, v1
	v_bfe_u32 v1, v8, 16, 1
	v_bfe_u32 v7, v3, 16, 1
	;; [unrolled: 1-line block ×8, first 2 shown]
	v_add3_u32 v1, v8, v1, 0x7fff
	v_add3_u32 v3, v3, v7, 0x7fff
	v_add3_u32 v7, v10, v13, 0x7fff
	v_add3_u32 v5, v5, v14, 0x7fff
	v_add3_u32 v8, v11, v15, 0x7fff
	v_add3_u32 v6, v6, v16, 0x7fff
	v_add3_u32 v10, v12, v18, 0x7fff
	v_add3_u32 v2, v2, v19, 0x7fff
	ds_store_b16_d16_hi v4, v1
	ds_store_b16_d16_hi v4, v3 offset:32
	ds_store_b16_d16_hi v4, v7 offset:64
	;; [unrolled: 1-line block ×7, first 2 shown]
.LBB9_4:
	s_or_b32 exec_lo, exec_lo, s7
	v_lshrrev_b32_e32 v1, 5, v0
	s_cmp_gt_i32 s11, 0
	s_waitcnt lgkmcnt(0)
	s_barrier
	buffer_gl0_inv
	v_lshl_add_u32 v23, v1, 4, s6
	s_cbranch_scc1 .LBB9_6
; %bb.5:
	v_lshl_add_u32 v11, v1, 4, s6
	s_mov_b32 s6, 0
	s_mov_b32 s7, 0
	s_branch .LBB9_7
.LBB9_6:
	s_mov_b32 s6, -1
                                        ; implicit-def: $sgpr7
                                        ; implicit-def: $vgpr11
.LBB9_7:
	s_load_b64 s[28:29], s[0:1], 0x20
	v_dual_mov_b32 v8, s7 :: v_dual_mov_b32 v7, s7
	v_dual_mov_b32 v6, s7 :: v_dual_mov_b32 v5, s7
	;; [unrolled: 1-line block ×4, first 2 shown]
	s_and_not1_b32 vcc_lo, exec_lo, s6
	s_cbranch_vccz .LBB9_10
; %bb.8:
	s_cmp_lt_u32 s3, 2
	s_mov_b32 s0, -1
	s_cbranch_scc1 .LBB9_21
.LBB9_9:
	s_and_not1_b32 vcc_lo, exec_lo, s0
	s_cbranch_vccz .LBB9_71
	s_branch .LBB9_231
.LBB9_10:
	s_clause 0x1
	s_load_b64 s[8:9], s[0:1], 0x40
	s_load_b64 s[6:7], s[0:1], 0x0
	s_ashr_i32 s0, s21, 31
	s_ashr_i32 s1, s10, 31
	s_lshr_b32 s0, s0, 29
	s_add_i32 s23, s4, s11
	s_add_i32 s0, s21, s0
	s_lshr_b32 s1, s1, 29
	s_ashr_i32 s34, s0, 3
	v_or_b32_e32 v5, v23, v22
	v_dual_mov_b32 v1, 0 :: v_dual_lshlrev_b32 v2, 2, v0
	v_lshlrev_b32_e32 v4, 3, v9
	v_add_nc_u32_e32 v12, s1, v17
	s_delay_alu instid0(VALU_DEP_4)
	v_mul_lo_u32 v8, v5, s22
	v_cmp_le_i32_e64 s0, s21, v17
	v_and_b32_e32 v24, 28, v2
	v_cmp_gt_i32_e64 s1, s20, v5
	v_mov_b32_e32 v5, v1
	v_ashrrev_i32_e32 v18, 3, v12
	s_waitcnt lgkmcnt(0)
	s_cmp_lg_u64 s[8:9], 0
	s_mov_b32 s42, 0
	s_cselect_b32 s35, -1, 0
	s_abs_i32 s36, s5
	v_ashrrev_i32_e32 v9, 31, v8
	v_cvt_f32_u32_e32 v3, s36
	s_sub_i32 s10, 0, s36
	s_mov_b32 s41, 0xf000f
	v_mov_b32_e32 v2, v1
	v_lshlrev_b64 v[8:9], 1, v[8:9]
	v_rcp_iflag_f32_e32 v7, v3
	v_dual_mov_b32 v3, v1 :: v_dual_add_nc_u32 v6, v23, v22
	v_dual_mov_b32 v4, v1 :: v_dual_lshlrev_b32 v25, 5, v4
	s_delay_alu instid0(VALU_DEP_3) | instskip(NEXT) | instid1(VALU_DEP_4)
	v_add_co_u32 v26, vcc_lo, s6, v8
	v_add_co_ci_u32_e32 v27, vcc_lo, s7, v9, vcc_lo
	s_waitcnt_depctr 0xfff
	v_dual_mov_b32 v8, v1 :: v_dual_mul_f32 v7, 0x4f7ffffe, v7
	v_mul_lo_u32 v10, s22, v6
	s_ashr_i32 s22, s5, 31
	s_ashr_i32 s5, s4, 31
	v_mov_b32_e32 v6, v1
	v_cvt_u32_f32_e32 v13, v7
	v_mov_b32_e32 v7, v1
	s_delay_alu instid0(VALU_DEP_4) | instskip(NEXT) | instid1(VALU_DEP_3)
	v_ashrrev_i32_e32 v11, 31, v10
	v_readfirstlane_b32 s12, v13
	s_delay_alu instid0(VALU_DEP_2) | instskip(NEXT) | instid1(VALU_DEP_2)
	v_lshlrev_b64 v[10:11], 1, v[10:11]
	s_mul_i32 s10, s10, s12
	s_delay_alu instid0(SALU_CYCLE_1)
	s_mul_hi_u32 s13, s12, s10
	s_lshl_b64 s[10:11], s[4:5], 2
	s_add_i32 s37, s12, s13
	s_add_u32 s8, s10, s8
	s_addc_u32 s9, s11, s9
	s_add_u32 s38, s8, 60
	s_addc_u32 s39, s9, 0
	s_lshl_b64 s[8:9], s[4:5], 1
	s_add_i32 s40, s4, 16
	s_add_u32 s4, s6, s8
	s_addc_u32 s5, s7, s9
	v_add_co_u32 v19, vcc_lo, s4, v10
	v_add_co_ci_u32_e32 v20, vcc_lo, s5, v11, vcc_lo
.LBB9_11:                               ; =>This Inner Loop Header: Depth=1
	s_cmp_ge_i32 s40, s23
	s_cselect_b32 s4, -1, 0
	s_delay_alu instid0(SALU_CYCLE_1) | instskip(NEXT) | instid1(SALU_CYCLE_1)
	s_or_b32 s4, s2, s4
	s_or_b32 s4, s4, s0
	s_delay_alu instid0(SALU_CYCLE_1) | instskip(NEXT) | instid1(SALU_CYCLE_1)
	s_xor_b32 s5, s4, -1
	s_and_saveexec_b32 s4, s5
	s_cbranch_execz .LBB9_13
; %bb.12:                               ;   in Loop: Header=BB9_11 Depth=1
	s_abs_i32 s6, s40
	s_ashr_i32 s5, s40, 31
	s_mul_hi_u32 s8, s6, s37
	s_lshr_b32 s7, s5, 29
	s_mul_i32 s9, s8, s36
	s_add_i32 s7, s40, s7
	s_sub_i32 s6, s6, s9
	s_ashr_i32 s7, s7, 3
	s_xor_b32 s5, s5, s22
	s_add_i32 s9, s8, 1
	s_sub_i32 s10, s6, s36
	s_cmp_ge_u32 s6, s36
	v_add_nc_u32_e32 v13, s7, v21
	s_cselect_b32 s8, s9, s8
	s_cselect_b32 s6, s10, s6
	s_add_i32 s9, s8, 1
	s_cmp_ge_u32 s6, s36
	v_mad_u64_u32 v[11:12], null, v13, s21, v[17:18]
	s_cselect_b32 s6, s9, s8
	s_delay_alu instid0(SALU_CYCLE_1) | instskip(NEXT) | instid1(SALU_CYCLE_1)
	s_xor_b32 s6, s6, s5
	s_sub_i32 s5, s6, s5
	s_delay_alu instid0(SALU_CYCLE_1) | instskip(SKIP_1) | instid1(VALU_DEP_3)
	v_mad_u64_u32 v[9:10], null, s5, s34, v[18:19]
	v_mad_u64_u32 v[13:14], null, s5, s21, v[17:18]
	v_ashrrev_i32_e32 v12, 31, v11
	s_lshl_b32 s5, s42, 9
	s_delay_alu instid0(VALU_DEP_3) | instskip(NEXT) | instid1(VALU_DEP_2)
	v_ashrrev_i32_e32 v10, 31, v9
	v_lshlrev_b64 v[11:12], 2, v[11:12]
	s_delay_alu instid0(VALU_DEP_4) | instskip(NEXT) | instid1(VALU_DEP_3)
	v_ashrrev_i32_e32 v14, 31, v13
	v_lshlrev_b64 v[9:10], 2, v[9:10]
	s_delay_alu instid0(VALU_DEP_1) | instskip(NEXT) | instid1(VALU_DEP_2)
	v_add_co_u32 v9, vcc_lo, s26, v9
	v_add_co_ci_u32_e32 v10, vcc_lo, s27, v10, vcc_lo
	v_add_co_u32 v11, vcc_lo, s24, v11
	v_add_co_ci_u32_e32 v12, vcc_lo, s25, v12, vcc_lo
	global_load_b32 v15, v[9:10], off
	v_lshlrev_b64 v[9:10], 1, v[13:14]
	global_load_b32 v11, v[11:12], off
	v_add_co_u32 v9, vcc_lo, s30, v9
	v_add_co_ci_u32_e32 v10, vcc_lo, s31, v10, vcc_lo
	global_load_u16 v9, v[9:10], off
	v_subrev_nc_u32_e32 v10, s5, v25
	s_delay_alu instid0(VALU_DEP_1)
	v_lshl_or_b32 v10, v22, 1, v10
	s_waitcnt vmcnt(2)
	v_bfe_u32 v12, v15, v24, 4
	s_waitcnt vmcnt(1)
	v_lshrrev_b32_e32 v15, 12, v11
	v_lshrrev_b32_e32 v13, 4, v11
	s_delay_alu instid0(VALU_DEP_3)
	v_add_nc_u32_e32 v12, s33, v12
	v_lshrrev_b32_e32 v14, 8, v11
	v_and_or_b32 v11, v11, s41, 0x43004300
	v_and_or_b32 v15, v15, s41, 0x43004300
	;; [unrolled: 1-line block ×3, first 2 shown]
	v_cvt_f32_u32_e32 v12, v12
	v_and_or_b32 v14, v14, s41, 0x43004300
	v_lshlrev_b32_e32 v16, 16, v11
	v_lshlrev_b32_e32 v30, 16, v15
	s_waitcnt vmcnt(0)
	v_dual_add_f32 v12, 0x43000000, v12 :: v_dual_lshlrev_b32 v9, 16, v9
	v_and_b32_e32 v15, 0x430f0000, v15
	v_lshlrev_b32_e32 v28, 16, v13
	v_and_b32_e32 v13, 0x430f0000, v13
	v_lshlrev_b32_e32 v29, 16, v14
	v_mul_f32_e64 v12, v9, -v12
	v_and_b32_e32 v11, 0x430f0000, v11
	v_and_b32_e32 v14, 0x430f0000, v14
	s_delay_alu instid0(VALU_DEP_3) | instskip(NEXT) | instid1(VALU_DEP_3)
	v_fma_f32 v16, v16, v9, v12
	v_fma_f32 v11, v11, v9, v12
	;; [unrolled: 1-line block ×7, first 2 shown]
	v_fmac_f32_e32 v12, v15, v9
	v_bfe_u32 v9, v16, 16, 1
	v_bfe_u32 v15, v11, 16, 1
	;; [unrolled: 1-line block ×8, first 2 shown]
	v_add3_u32 v9, v16, v9, 0x7fff
	v_add3_u32 v11, v11, v15, 0x7fff
	;; [unrolled: 1-line block ×8, first 2 shown]
	ds_store_b16_d16_hi v10, v9 offset:512
	ds_store_b16_d16_hi v10, v11 offset:544
	;; [unrolled: 1-line block ×8, first 2 shown]
.LBB9_13:                               ;   in Loop: Header=BB9_11 Depth=1
	s_or_b32 exec_lo, exec_lo, s4
	v_dual_mov_b32 v9, 0 :: v_dual_mov_b32 v10, 0
	v_dual_mov_b32 v11, 0 :: v_dual_mov_b32 v12, 0
	;; [unrolled: 1-line block ×4, first 2 shown]
	s_and_saveexec_b32 s43, s1
	s_cbranch_execz .LBB9_17
; %bb.14:                               ;   in Loop: Header=BB9_11 Depth=1
	s_and_not1_b32 vcc_lo, exec_lo, s35
	s_cbranch_vccnz .LBB9_19
; %bb.15:                               ;   in Loop: Header=BB9_11 Depth=1
	s_add_u32 s4, s38, 0xffffffc4
	s_addc_u32 s5, s39, -1
	s_load_b512 s[4:19], s[4:5], 0x0
	s_waitcnt lgkmcnt(0)
	s_ashr_i32 s45, s4, 31
	s_mov_b32 s44, s4
	s_ashr_i32 s47, s5, 31
	s_lshl_b64 s[44:45], s[44:45], 1
	s_mov_b32 s46, s5
	v_add_co_u32 v9, vcc_lo, v26, s44
	s_lshl_b64 s[46:47], s[46:47], 1
	s_ashr_i32 s5, s6, 31
	s_mov_b32 s4, s6
	v_add_co_ci_u32_e32 v10, vcc_lo, s45, v27, vcc_lo
	v_add_co_u32 v11, vcc_lo, v26, s46
	s_lshl_b64 s[4:5], s[4:5], 1
	s_ashr_i32 s49, s7, 31
	s_mov_b32 s48, s7
	v_add_co_ci_u32_e32 v12, vcc_lo, s47, v27, vcc_lo
	v_add_co_u32 v13, vcc_lo, v26, s4
	s_lshl_b64 s[48:49], s[48:49], 1
	s_ashr_i32 s7, s8, 31
	v_add_co_ci_u32_e32 v14, vcc_lo, s5, v27, vcc_lo
	s_mov_b32 s6, s8
	v_add_co_u32 v15, vcc_lo, v26, s48
	s_lshl_b64 s[4:5], s[6:7], 1
	v_add_co_ci_u32_e32 v16, vcc_lo, s49, v27, vcc_lo
	s_ashr_i32 s7, s9, 31
	s_mov_b32 s6, s9
	v_add_co_u32 v28, vcc_lo, v26, s4
	v_add_co_ci_u32_e32 v29, vcc_lo, s5, v27, vcc_lo
	s_lshl_b64 s[4:5], s[6:7], 1
	s_ashr_i32 s7, s10, 31
	s_mov_b32 s6, s10
	v_add_co_u32 v30, vcc_lo, v26, s4
	v_add_co_ci_u32_e32 v31, vcc_lo, s5, v27, vcc_lo
	s_lshl_b64 s[4:5], s[6:7], 1
	;; [unrolled: 5-line block ×3, first 2 shown]
	s_ashr_i32 s7, s13, 31
	v_add_co_u32 v34, vcc_lo, v26, s4
	v_add_co_ci_u32_e32 v35, vcc_lo, s5, v27, vcc_lo
	s_ashr_i32 s5, s12, 31
	s_mov_b32 s4, s12
	s_clause 0x7
	global_load_u16 v36, v[9:10], off
	global_load_u16 v37, v[11:12], off
	;; [unrolled: 1-line block ×8, first 2 shown]
	s_lshl_b64 s[4:5], s[4:5], 1
	s_mov_b32 s6, s13
	v_add_co_u32 v9, vcc_lo, v26, s4
	v_add_co_ci_u32_e32 v10, vcc_lo, s5, v27, vcc_lo
	s_lshl_b64 s[4:5], s[6:7], 1
	s_ashr_i32 s7, s14, 31
	s_mov_b32 s6, s14
	v_add_co_u32 v11, vcc_lo, v26, s4
	v_add_co_ci_u32_e32 v12, vcc_lo, s5, v27, vcc_lo
	s_lshl_b64 s[4:5], s[6:7], 1
	s_ashr_i32 s7, s15, 31
	;; [unrolled: 5-line block ×6, first 2 shown]
	s_mov_b32 s6, s19
	v_add_co_u32 v32, vcc_lo, v26, s4
	v_add_co_ci_u32_e32 v33, vcc_lo, s5, v27, vcc_lo
	s_lshl_b64 s[4:5], s[6:7], 1
	s_delay_alu instid0(SALU_CYCLE_1)
	v_add_co_u32 v34, vcc_lo, v26, s4
	v_add_co_ci_u32_e32 v35, vcc_lo, s5, v27, vcc_lo
	s_clause 0x7
	global_load_u16 v44, v[9:10], off
	global_load_u16 v45, v[11:12], off
	;; [unrolled: 1-line block ×8, first 2 shown]
	s_waitcnt vmcnt(14)
	v_perm_b32 v9, v37, v36, 0x5040100
	s_waitcnt vmcnt(12)
	v_perm_b32 v10, v39, v38, 0x5040100
	;; [unrolled: 2-line block ×8, first 2 shown]
	s_cbranch_execnz .LBB9_17
.LBB9_16:                               ;   in Loop: Header=BB9_11 Depth=1
	s_clause 0x1
	global_load_b128 v[9:12], v[19:20], off
	global_load_b128 v[13:16], v[19:20], off offset:16
.LBB9_17:                               ;   in Loop: Header=BB9_11 Depth=1
	s_or_b32 exec_lo, exec_lo, s43
	v_lshlrev_b32_e32 v28, 1, v22
	v_add_co_u32 v19, vcc_lo, v19, 32
	v_add_co_ci_u32_e32 v20, vcc_lo, 0, v20, vcc_lo
	s_delay_alu instid0(VALU_DEP_3)
	v_lshl_or_b32 v28, s42, 9, v28
	s_sub_i32 s42, 1, s42
	s_add_u32 s38, s38, 64
	s_addc_u32 s39, s39, 0
	s_add_i32 s4, s40, 16
	ds_load_u16 v29, v28 offset:256
	ds_load_u16 v30, v28 offset:288
	;; [unrolled: 1-line block ×14, first 2 shown]
	ds_load_u16 v43, v28
	ds_load_u16 v28, v28 offset:32
	s_cmp_ge_i32 s40, s23
	s_waitcnt vmcnt(0) lgkmcnt(0)
	s_barrier
	buffer_gl0_inv
	v_perm_b32 v34, v34, v33, 0x5040100
	v_perm_b32 v33, v32, v31, 0x5040100
	;; [unrolled: 1-line block ×8, first 2 shown]
	s_delay_alu instid0(VALU_DEP_1)
	v_wmma_f32_16x16x16_bf16 v[1:8], v[9:16], v[28:35], v[1:8]
	s_cbranch_scc1 .LBB9_20
; %bb.18:                               ;   in Loop: Header=BB9_11 Depth=1
	s_mov_b32 s40, s4
	s_branch .LBB9_11
.LBB9_19:                               ;   in Loop: Header=BB9_11 Depth=1
                                        ; implicit-def: $vgpr16
	s_branch .LBB9_16
.LBB9_20:
	v_mov_b32_e32 v11, v23
	s_cmp_lt_u32 s3, 2
	s_mov_b32 s0, -1
	s_cbranch_scc0 .LBB9_9
.LBB9_21:
	s_mov_b32 s0, exec_lo
	v_cmpx_gt_i32_e64 s21, v17
	s_cbranch_execz .LBB9_70
; %bb.22:
	v_ashrrev_i32_e32 v18, 31, v17
	v_or_b32_e32 v12, v11, v21
	s_mov_b32 s1, exec_lo
	s_delay_alu instid0(VALU_DEP_2) | instskip(SKIP_1) | instid1(VALU_DEP_1)
	v_lshlrev_b64 v[9:10], 1, v[17:18]
	s_waitcnt lgkmcnt(0)
	v_add_co_u32 v9, vcc_lo, s28, v9
	s_delay_alu instid0(VALU_DEP_2)
	v_add_co_ci_u32_e32 v10, vcc_lo, s29, v10, vcc_lo
	v_cmpx_gt_i32_e64 s20, v12
	s_cbranch_execz .LBB9_28
; %bb.23:
	v_and_b32_e32 v13, 0x7f800000, v1
	s_delay_alu instid0(VALU_DEP_1) | instskip(SKIP_1) | instid1(SALU_CYCLE_1)
	v_cmp_ne_u32_e32 vcc_lo, 0x7f800000, v13
                                        ; implicit-def: $vgpr13
	s_and_saveexec_b32 s2, vcc_lo
	s_xor_b32 s2, exec_lo, s2
; %bb.24:
	v_bfe_u32 v13, v1, 16, 1
	s_delay_alu instid0(VALU_DEP_1)
	v_add3_u32 v13, v1, v13, 0x7fff
; %bb.25:
	s_and_not1_saveexec_b32 s2, s2
; %bb.26:
	v_and_b32_e32 v13, 0xffff, v1
	v_or_b32_e32 v14, 0x10000, v1
	s_delay_alu instid0(VALU_DEP_2) | instskip(NEXT) | instid1(VALU_DEP_2)
	v_cmp_eq_u32_e32 vcc_lo, 0, v13
	v_cndmask_b32_e32 v13, v14, v1, vcc_lo
; %bb.27:
	s_or_b32 exec_lo, exec_lo, s2
	v_mul_lo_u32 v14, v12, s21
	s_delay_alu instid0(VALU_DEP_1) | instskip(NEXT) | instid1(VALU_DEP_1)
	v_ashrrev_i32_e32 v15, 31, v14
	v_lshlrev_b64 v[14:15], 1, v[14:15]
	s_delay_alu instid0(VALU_DEP_1) | instskip(NEXT) | instid1(VALU_DEP_2)
	v_add_co_u32 v14, vcc_lo, v9, v14
	v_add_co_ci_u32_e32 v15, vcc_lo, v10, v15, vcc_lo
	global_store_d16_hi_b16 v[14:15], v13, off
.LBB9_28:
	s_or_b32 exec_lo, exec_lo, s1
	v_add3_u32 v12, v11, v21, 2
	s_mov_b32 s1, exec_lo
	s_delay_alu instid0(VALU_DEP_1)
	v_cmpx_gt_i32_e64 s20, v12
	s_cbranch_execz .LBB9_34
; %bb.29:
	v_and_b32_e32 v13, 0x7f800000, v2
	s_delay_alu instid0(VALU_DEP_1) | instskip(SKIP_1) | instid1(SALU_CYCLE_1)
	v_cmp_ne_u32_e32 vcc_lo, 0x7f800000, v13
                                        ; implicit-def: $vgpr13
	s_and_saveexec_b32 s2, vcc_lo
	s_xor_b32 s2, exec_lo, s2
; %bb.30:
	v_bfe_u32 v13, v2, 16, 1
	s_delay_alu instid0(VALU_DEP_1)
	v_add3_u32 v13, v2, v13, 0x7fff
; %bb.31:
	s_and_not1_saveexec_b32 s2, s2
; %bb.32:
	v_and_b32_e32 v13, 0xffff, v2
	v_or_b32_e32 v14, 0x10000, v2
	s_delay_alu instid0(VALU_DEP_2) | instskip(NEXT) | instid1(VALU_DEP_2)
	v_cmp_eq_u32_e32 vcc_lo, 0, v13
	v_cndmask_b32_e32 v13, v14, v2, vcc_lo
; %bb.33:
	s_or_b32 exec_lo, exec_lo, s2
	v_mul_lo_u32 v14, v12, s21
	s_delay_alu instid0(VALU_DEP_1) | instskip(NEXT) | instid1(VALU_DEP_1)
	v_ashrrev_i32_e32 v15, 31, v14
	v_lshlrev_b64 v[14:15], 1, v[14:15]
	s_delay_alu instid0(VALU_DEP_1) | instskip(NEXT) | instid1(VALU_DEP_2)
	v_add_co_u32 v14, vcc_lo, v9, v14
	v_add_co_ci_u32_e32 v15, vcc_lo, v10, v15, vcc_lo
	global_store_d16_hi_b16 v[14:15], v13, off
.LBB9_34:
	s_or_b32 exec_lo, exec_lo, s1
	v_add3_u32 v12, v11, v21, 4
	s_mov_b32 s1, exec_lo
	s_delay_alu instid0(VALU_DEP_1)
	;; [unrolled: 36-line block ×6, first 2 shown]
	v_cmpx_gt_i32_e64 s20, v12
	s_cbranch_execz .LBB9_64
; %bb.59:
	v_and_b32_e32 v13, 0x7f800000, v7
	s_delay_alu instid0(VALU_DEP_1) | instskip(SKIP_1) | instid1(SALU_CYCLE_1)
	v_cmp_ne_u32_e32 vcc_lo, 0x7f800000, v13
                                        ; implicit-def: $vgpr13
	s_and_saveexec_b32 s2, vcc_lo
	s_xor_b32 s2, exec_lo, s2
; %bb.60:
	v_bfe_u32 v13, v7, 16, 1
	s_delay_alu instid0(VALU_DEP_1)
	v_add3_u32 v13, v7, v13, 0x7fff
; %bb.61:
	s_and_not1_saveexec_b32 s2, s2
; %bb.62:
	v_and_b32_e32 v13, 0xffff, v7
	v_or_b32_e32 v14, 0x10000, v7
	s_delay_alu instid0(VALU_DEP_2) | instskip(NEXT) | instid1(VALU_DEP_2)
	v_cmp_eq_u32_e32 vcc_lo, 0, v13
	v_cndmask_b32_e32 v13, v14, v7, vcc_lo
; %bb.63:
	s_or_b32 exec_lo, exec_lo, s2
	v_mul_lo_u32 v14, v12, s21
	s_delay_alu instid0(VALU_DEP_1) | instskip(NEXT) | instid1(VALU_DEP_1)
	v_ashrrev_i32_e32 v15, 31, v14
	v_lshlrev_b64 v[14:15], 1, v[14:15]
	s_delay_alu instid0(VALU_DEP_1) | instskip(NEXT) | instid1(VALU_DEP_2)
	v_add_co_u32 v14, vcc_lo, v9, v14
	v_add_co_ci_u32_e32 v15, vcc_lo, v10, v15, vcc_lo
	global_store_d16_hi_b16 v[14:15], v13, off
.LBB9_64:
	s_or_b32 exec_lo, exec_lo, s1
	v_add3_u32 v12, v11, v21, 14
	s_delay_alu instid0(VALU_DEP_1)
	v_cmp_gt_i32_e32 vcc_lo, s20, v12
	s_and_b32 exec_lo, exec_lo, vcc_lo
	s_cbranch_execz .LBB9_70
; %bb.65:
	v_and_b32_e32 v13, 0x7f800000, v8
	s_delay_alu instid0(VALU_DEP_1) | instskip(SKIP_1) | instid1(SALU_CYCLE_1)
	v_cmp_ne_u32_e32 vcc_lo, 0x7f800000, v13
                                        ; implicit-def: $vgpr13
	s_and_saveexec_b32 s1, vcc_lo
	s_xor_b32 s1, exec_lo, s1
; %bb.66:
	v_bfe_u32 v13, v8, 16, 1
	s_delay_alu instid0(VALU_DEP_1)
	v_add3_u32 v13, v8, v13, 0x7fff
; %bb.67:
	s_and_not1_saveexec_b32 s1, s1
; %bb.68:
	v_and_b32_e32 v13, 0xffff, v8
	v_or_b32_e32 v14, 0x10000, v8
	s_delay_alu instid0(VALU_DEP_2) | instskip(NEXT) | instid1(VALU_DEP_2)
	v_cmp_eq_u32_e32 vcc_lo, 0, v13
	v_cndmask_b32_e32 v13, v14, v8, vcc_lo
; %bb.69:
	s_or_b32 exec_lo, exec_lo, s1
	v_mul_lo_u32 v14, v12, s21
	s_delay_alu instid0(VALU_DEP_1) | instskip(NEXT) | instid1(VALU_DEP_1)
	v_ashrrev_i32_e32 v15, 31, v14
	v_lshlrev_b64 v[14:15], 1, v[14:15]
	s_delay_alu instid0(VALU_DEP_1) | instskip(NEXT) | instid1(VALU_DEP_2)
	v_add_co_u32 v9, vcc_lo, v9, v14
	v_add_co_ci_u32_e32 v10, vcc_lo, v10, v15, vcc_lo
	global_store_d16_hi_b16 v[9:10], v13, off
.LBB9_70:
	s_or_b32 exec_lo, exec_lo, s0
	s_cbranch_execnz .LBB9_231
.LBB9_71:
	v_mbcnt_lo_u32_b32 v9, -1, 0
	v_ashrrev_i32_e32 v18, 31, v17
	v_and_b32_e32 v0, 1, v0
	s_delay_alu instid0(VALU_DEP_3) | instskip(NEXT) | instid1(VALU_DEP_3)
	v_xor_b32_e32 v10, 1, v9
	v_lshlrev_b64 v[12:13], 1, v[17:18]
	s_delay_alu instid0(VALU_DEP_3) | instskip(NEXT) | instid1(VALU_DEP_3)
	v_cmp_eq_u32_e64 s0, 0, v0
	v_cmp_gt_i32_e32 vcc_lo, 32, v10
	s_waitcnt lgkmcnt(0)
	s_delay_alu instid0(VALU_DEP_3) | instskip(NEXT) | instid1(VALU_DEP_1)
	v_add_co_u32 v12, s1, s28, v12
	v_add_co_ci_u32_e64 v13, s1, s29, v13, s1
	v_cndmask_b32_e32 v9, v9, v10, vcc_lo
	v_cmp_gt_i32_e32 vcc_lo, s21, v17
	s_delay_alu instid0(VALU_DEP_2)
	v_lshlrev_b32_e32 v14, 2, v9
	ds_bpermute_b32 v9, v14, v1
	s_and_saveexec_b32 s2, s0
	s_cbranch_execz .LBB9_91
; %bb.72:
	v_or_b32_e32 v0, v11, v21
	s_delay_alu instid0(VALU_DEP_1) | instskip(NEXT) | instid1(VALU_DEP_1)
	v_cmp_gt_i32_e64 s1, s20, v0
	s_and_b32 s1, s1, vcc_lo
	s_delay_alu instid0(SALU_CYCLE_1)
	s_and_b32 exec_lo, exec_lo, s1
	s_cbranch_execz .LBB9_91
; %bb.73:
	v_and_b32_e32 v10, 0x7f800000, v1
                                        ; implicit-def: $vgpr15
	s_delay_alu instid0(VALU_DEP_1) | instskip(NEXT) | instid1(VALU_DEP_1)
	v_cmp_ne_u32_e64 s1, 0x7f800000, v10
	s_and_saveexec_b32 s3, s1
	s_delay_alu instid0(SALU_CYCLE_1)
	s_xor_b32 s1, exec_lo, s3
; %bb.74:
	v_bfe_u32 v10, v1, 16, 1
	s_delay_alu instid0(VALU_DEP_1)
	v_add3_u32 v15, v1, v10, 0x7fff
; %bb.75:
	s_and_not1_saveexec_b32 s3, s1
; %bb.76:
	v_and_b32_e32 v10, 0xffff, v1
	v_or_b32_e32 v15, 0x10000, v1
	s_delay_alu instid0(VALU_DEP_2) | instskip(NEXT) | instid1(VALU_DEP_1)
	v_cmp_eq_u32_e64 s1, 0, v10
	v_cndmask_b32_e64 v15, v15, v1, s1
; %bb.77:
	s_or_b32 exec_lo, exec_lo, s3
	s_waitcnt lgkmcnt(0)
	v_and_b32_e32 v1, 0x7f800000, v9
                                        ; implicit-def: $vgpr16
	s_delay_alu instid0(VALU_DEP_1) | instskip(NEXT) | instid1(VALU_DEP_1)
	v_cmp_ne_u32_e64 s1, 0x7f800000, v1
	s_and_saveexec_b32 s3, s1
	s_delay_alu instid0(SALU_CYCLE_1)
	s_xor_b32 s1, exec_lo, s3
; %bb.78:
	v_bfe_u32 v1, v9, 16, 1
	s_delay_alu instid0(VALU_DEP_1)
	v_add3_u32 v16, v9, v1, 0x7fff
                                        ; implicit-def: $vgpr9
; %bb.79:
	s_and_not1_saveexec_b32 s3, s1
; %bb.80:
	v_and_b32_e32 v1, 0xffff, v9
	v_or_b32_e32 v10, 0x10000, v9
	s_delay_alu instid0(VALU_DEP_2) | instskip(NEXT) | instid1(VALU_DEP_1)
	v_cmp_eq_u32_e64 s1, 0, v1
	v_cndmask_b32_e64 v16, v10, v9, s1
; %bb.81:
	s_or_b32 exec_lo, exec_lo, s3
	v_mul_lo_u32 v0, v0, s21
	v_and_b32_e32 v15, 0xffff0000, v15
	s_delay_alu instid0(VALU_DEP_3) | instskip(SKIP_1) | instid1(VALU_DEP_3)
	v_and_b32_e32 v16, 0xffff0000, v16
	s_mov_b32 s3, 0
	v_ashrrev_i32_e32 v1, 31, v0
	s_delay_alu instid0(VALU_DEP_1) | instskip(NEXT) | instid1(VALU_DEP_1)
	v_lshlrev_b64 v[0:1], 1, v[0:1]
	v_add_co_u32 v0, s1, v12, v0
	s_delay_alu instid0(VALU_DEP_1)
	v_add_co_ci_u32_e64 v1, s1, v13, v1, s1
	global_load_b32 v10, v[0:1], off
	s_branch .LBB9_83
.LBB9_82:                               ;   in Loop: Header=BB9_83 Depth=1
	s_or_b32 exec_lo, exec_lo, s4
	v_lshrrev_b32_e32 v9, 16, v9
	s_delay_alu instid0(VALU_DEP_1) | instskip(SKIP_4) | instid1(VALU_DEP_2)
	v_and_or_b32 v9, 0xffff0000, v18, v9
	global_atomic_cmpswap_b32 v9, v[0:1], v[9:10], off glc
	s_waitcnt vmcnt(0)
	v_cmp_eq_u32_e64 s1, v9, v10
	v_mov_b32_e32 v10, v9
	s_or_b32 s3, s1, s3
	s_delay_alu instid0(SALU_CYCLE_1)
	s_and_not1_b32 exec_lo, exec_lo, s3
	s_cbranch_execz .LBB9_91
.LBB9_83:                               ; =>This Inner Loop Header: Depth=1
	s_waitcnt vmcnt(0)
	v_lshlrev_b32_e32 v9, 16, v10
	s_delay_alu instid0(VALU_DEP_1) | instskip(NEXT) | instid1(VALU_DEP_1)
	v_add_f32_e32 v17, v15, v9
	v_and_b32_e32 v9, 0x7f800000, v17
	s_delay_alu instid0(VALU_DEP_1) | instskip(NEXT) | instid1(VALU_DEP_1)
	v_cmp_ne_u32_e64 s1, 0x7f800000, v9
                                        ; implicit-def: $vgpr9
	s_and_saveexec_b32 s4, s1
	s_delay_alu instid0(SALU_CYCLE_1)
	s_xor_b32 s1, exec_lo, s4
; %bb.84:                               ;   in Loop: Header=BB9_83 Depth=1
	v_bfe_u32 v9, v17, 16, 1
	s_delay_alu instid0(VALU_DEP_1)
	v_add3_u32 v9, v17, v9, 0x7fff
                                        ; implicit-def: $vgpr17
; %bb.85:                               ;   in Loop: Header=BB9_83 Depth=1
	s_and_not1_saveexec_b32 s4, s1
; %bb.86:                               ;   in Loop: Header=BB9_83 Depth=1
	v_and_b32_e32 v9, 0xffff, v17
	v_or_b32_e32 v18, 0x10000, v17
	s_delay_alu instid0(VALU_DEP_2) | instskip(NEXT) | instid1(VALU_DEP_1)
	v_cmp_eq_u32_e64 s1, 0, v9
	v_cndmask_b32_e64 v9, v18, v17, s1
; %bb.87:                               ;   in Loop: Header=BB9_83 Depth=1
	s_or_b32 exec_lo, exec_lo, s4
	v_and_b32_e32 v17, 0xffff0000, v10
	s_delay_alu instid0(VALU_DEP_1) | instskip(NEXT) | instid1(VALU_DEP_1)
	v_add_f32_e32 v17, v16, v17
	v_and_b32_e32 v18, 0x7f800000, v17
	s_delay_alu instid0(VALU_DEP_1) | instskip(NEXT) | instid1(VALU_DEP_1)
	v_cmp_ne_u32_e64 s1, 0x7f800000, v18
                                        ; implicit-def: $vgpr18
	s_and_saveexec_b32 s4, s1
	s_delay_alu instid0(SALU_CYCLE_1)
	s_xor_b32 s1, exec_lo, s4
; %bb.88:                               ;   in Loop: Header=BB9_83 Depth=1
	v_bfe_u32 v18, v17, 16, 1
	s_delay_alu instid0(VALU_DEP_1)
	v_add3_u32 v18, v17, v18, 0x7fff
                                        ; implicit-def: $vgpr17
; %bb.89:                               ;   in Loop: Header=BB9_83 Depth=1
	s_and_not1_saveexec_b32 s4, s1
	s_cbranch_execz .LBB9_82
; %bb.90:                               ;   in Loop: Header=BB9_83 Depth=1
	v_and_b32_e32 v18, 0xffff, v17
	v_or_b32_e32 v19, 0x10000, v17
	s_delay_alu instid0(VALU_DEP_2) | instskip(NEXT) | instid1(VALU_DEP_1)
	v_cmp_eq_u32_e64 s1, 0, v18
	v_cndmask_b32_e64 v18, v19, v17, s1
	s_branch .LBB9_82
.LBB9_91:
	s_or_b32 exec_lo, exec_lo, s2
	ds_bpermute_b32 v1, v14, v2
	s_and_saveexec_b32 s2, s0
	s_cbranch_execz .LBB9_111
; %bb.92:
	v_add3_u32 v0, v11, v21, 2
	s_delay_alu instid0(VALU_DEP_1) | instskip(NEXT) | instid1(VALU_DEP_1)
	v_cmp_gt_i32_e64 s1, s20, v0
	s_and_b32 s1, s1, vcc_lo
	s_delay_alu instid0(SALU_CYCLE_1)
	s_and_b32 exec_lo, exec_lo, s1
	s_cbranch_execz .LBB9_111
; %bb.93:
	s_waitcnt lgkmcnt(1)
	v_and_b32_e32 v9, 0x7f800000, v2
	s_delay_alu instid0(VALU_DEP_1) | instskip(NEXT) | instid1(VALU_DEP_1)
	v_cmp_ne_u32_e64 s1, 0x7f800000, v9
                                        ; implicit-def: $vgpr9
	s_and_saveexec_b32 s3, s1
	s_delay_alu instid0(SALU_CYCLE_1)
	s_xor_b32 s1, exec_lo, s3
; %bb.94:
	v_bfe_u32 v9, v2, 16, 1
	s_delay_alu instid0(VALU_DEP_1)
	v_add3_u32 v9, v2, v9, 0x7fff
; %bb.95:
	s_and_not1_saveexec_b32 s3, s1
; %bb.96:
	v_and_b32_e32 v9, 0xffff, v2
	v_or_b32_e32 v10, 0x10000, v2
	s_delay_alu instid0(VALU_DEP_2) | instskip(NEXT) | instid1(VALU_DEP_1)
	v_cmp_eq_u32_e64 s1, 0, v9
	v_cndmask_b32_e64 v9, v10, v2, s1
; %bb.97:
	s_or_b32 exec_lo, exec_lo, s3
	s_waitcnt lgkmcnt(0)
	v_and_b32_e32 v2, 0x7f800000, v1
                                        ; implicit-def: $vgpr15
	s_delay_alu instid0(VALU_DEP_1) | instskip(NEXT) | instid1(VALU_DEP_1)
	v_cmp_ne_u32_e64 s1, 0x7f800000, v2
	s_and_saveexec_b32 s3, s1
	s_delay_alu instid0(SALU_CYCLE_1)
	s_xor_b32 s1, exec_lo, s3
; %bb.98:
	v_bfe_u32 v2, v1, 16, 1
	s_delay_alu instid0(VALU_DEP_1)
	v_add3_u32 v15, v1, v2, 0x7fff
                                        ; implicit-def: $vgpr1
; %bb.99:
	s_and_not1_saveexec_b32 s3, s1
; %bb.100:
	v_and_b32_e32 v2, 0xffff, v1
	v_or_b32_e32 v10, 0x10000, v1
	s_delay_alu instid0(VALU_DEP_2) | instskip(NEXT) | instid1(VALU_DEP_1)
	v_cmp_eq_u32_e64 s1, 0, v2
	v_cndmask_b32_e64 v15, v10, v1, s1
; %bb.101:
	s_or_b32 exec_lo, exec_lo, s3
	v_mul_lo_u32 v0, v0, s21
	v_and_b32_e32 v2, 0xffff0000, v9
	s_delay_alu instid0(VALU_DEP_3) | instskip(SKIP_1) | instid1(VALU_DEP_3)
	v_and_b32_e32 v15, 0xffff0000, v15
	s_mov_b32 s3, 0
	v_ashrrev_i32_e32 v1, 31, v0
	s_delay_alu instid0(VALU_DEP_1) | instskip(NEXT) | instid1(VALU_DEP_1)
	v_lshlrev_b64 v[0:1], 1, v[0:1]
	v_add_co_u32 v0, s1, v12, v0
	s_delay_alu instid0(VALU_DEP_1)
	v_add_co_ci_u32_e64 v1, s1, v13, v1, s1
	global_load_b32 v10, v[0:1], off
	s_branch .LBB9_103
.LBB9_102:                              ;   in Loop: Header=BB9_103 Depth=1
	s_or_b32 exec_lo, exec_lo, s4
	v_lshrrev_b32_e32 v9, 16, v9
	s_delay_alu instid0(VALU_DEP_1) | instskip(SKIP_4) | instid1(VALU_DEP_2)
	v_and_or_b32 v9, 0xffff0000, v17, v9
	global_atomic_cmpswap_b32 v9, v[0:1], v[9:10], off glc
	s_waitcnt vmcnt(0)
	v_cmp_eq_u32_e64 s1, v9, v10
	v_mov_b32_e32 v10, v9
	s_or_b32 s3, s1, s3
	s_delay_alu instid0(SALU_CYCLE_1)
	s_and_not1_b32 exec_lo, exec_lo, s3
	s_cbranch_execz .LBB9_111
.LBB9_103:                              ; =>This Inner Loop Header: Depth=1
	s_waitcnt vmcnt(0)
	v_lshlrev_b32_e32 v9, 16, v10
	s_delay_alu instid0(VALU_DEP_1) | instskip(NEXT) | instid1(VALU_DEP_1)
	v_add_f32_e32 v16, v2, v9
	v_and_b32_e32 v9, 0x7f800000, v16
	s_delay_alu instid0(VALU_DEP_1) | instskip(NEXT) | instid1(VALU_DEP_1)
	v_cmp_ne_u32_e64 s1, 0x7f800000, v9
                                        ; implicit-def: $vgpr9
	s_and_saveexec_b32 s4, s1
	s_delay_alu instid0(SALU_CYCLE_1)
	s_xor_b32 s1, exec_lo, s4
; %bb.104:                              ;   in Loop: Header=BB9_103 Depth=1
	v_bfe_u32 v9, v16, 16, 1
	s_delay_alu instid0(VALU_DEP_1)
	v_add3_u32 v9, v16, v9, 0x7fff
                                        ; implicit-def: $vgpr16
; %bb.105:                              ;   in Loop: Header=BB9_103 Depth=1
	s_and_not1_saveexec_b32 s4, s1
; %bb.106:                              ;   in Loop: Header=BB9_103 Depth=1
	v_and_b32_e32 v9, 0xffff, v16
	v_or_b32_e32 v17, 0x10000, v16
	s_delay_alu instid0(VALU_DEP_2) | instskip(NEXT) | instid1(VALU_DEP_1)
	v_cmp_eq_u32_e64 s1, 0, v9
	v_cndmask_b32_e64 v9, v17, v16, s1
; %bb.107:                              ;   in Loop: Header=BB9_103 Depth=1
	s_or_b32 exec_lo, exec_lo, s4
	v_and_b32_e32 v16, 0xffff0000, v10
	s_delay_alu instid0(VALU_DEP_1) | instskip(NEXT) | instid1(VALU_DEP_1)
	v_add_f32_e32 v16, v15, v16
	v_and_b32_e32 v17, 0x7f800000, v16
	s_delay_alu instid0(VALU_DEP_1) | instskip(NEXT) | instid1(VALU_DEP_1)
	v_cmp_ne_u32_e64 s1, 0x7f800000, v17
                                        ; implicit-def: $vgpr17
	s_and_saveexec_b32 s4, s1
	s_delay_alu instid0(SALU_CYCLE_1)
	s_xor_b32 s1, exec_lo, s4
; %bb.108:                              ;   in Loop: Header=BB9_103 Depth=1
	v_bfe_u32 v17, v16, 16, 1
	s_delay_alu instid0(VALU_DEP_1)
	v_add3_u32 v17, v16, v17, 0x7fff
                                        ; implicit-def: $vgpr16
; %bb.109:                              ;   in Loop: Header=BB9_103 Depth=1
	s_and_not1_saveexec_b32 s4, s1
	s_cbranch_execz .LBB9_102
; %bb.110:                              ;   in Loop: Header=BB9_103 Depth=1
	v_and_b32_e32 v17, 0xffff, v16
	v_or_b32_e32 v18, 0x10000, v16
	s_delay_alu instid0(VALU_DEP_2) | instskip(NEXT) | instid1(VALU_DEP_1)
	v_cmp_eq_u32_e64 s1, 0, v17
	v_cndmask_b32_e64 v17, v18, v16, s1
	s_branch .LBB9_102
.LBB9_111:
	s_or_b32 exec_lo, exec_lo, s2
	s_waitcnt lgkmcnt(0)
	ds_bpermute_b32 v1, v14, v3
	s_and_saveexec_b32 s2, s0
	s_cbranch_execz .LBB9_131
; %bb.112:
	v_add3_u32 v0, v11, v21, 4
	s_delay_alu instid0(VALU_DEP_1) | instskip(NEXT) | instid1(VALU_DEP_1)
	v_cmp_gt_i32_e64 s1, s20, v0
	s_and_b32 s1, s1, vcc_lo
	s_delay_alu instid0(SALU_CYCLE_1)
	s_and_b32 exec_lo, exec_lo, s1
	s_cbranch_execz .LBB9_131
; %bb.113:
	v_and_b32_e32 v2, 0x7f800000, v3
	s_delay_alu instid0(VALU_DEP_1) | instskip(NEXT) | instid1(VALU_DEP_1)
	v_cmp_ne_u32_e64 s1, 0x7f800000, v2
                                        ; implicit-def: $vgpr2
	s_and_saveexec_b32 s3, s1
	s_delay_alu instid0(SALU_CYCLE_1)
	s_xor_b32 s1, exec_lo, s3
; %bb.114:
	v_bfe_u32 v2, v3, 16, 1
	s_delay_alu instid0(VALU_DEP_1)
	v_add3_u32 v2, v3, v2, 0x7fff
; %bb.115:
	s_and_not1_saveexec_b32 s3, s1
; %bb.116:
	v_and_b32_e32 v2, 0xffff, v3
	v_or_b32_e32 v9, 0x10000, v3
	s_delay_alu instid0(VALU_DEP_2) | instskip(NEXT) | instid1(VALU_DEP_1)
	v_cmp_eq_u32_e64 s1, 0, v2
	v_cndmask_b32_e64 v2, v9, v3, s1
; %bb.117:
	s_or_b32 exec_lo, exec_lo, s3
	s_waitcnt lgkmcnt(0)
	v_and_b32_e32 v3, 0x7f800000, v1
                                        ; implicit-def: $vgpr10
	s_delay_alu instid0(VALU_DEP_1) | instskip(NEXT) | instid1(VALU_DEP_1)
	v_cmp_ne_u32_e64 s1, 0x7f800000, v3
	s_and_saveexec_b32 s3, s1
	s_delay_alu instid0(SALU_CYCLE_1)
	s_xor_b32 s1, exec_lo, s3
; %bb.118:
	v_bfe_u32 v3, v1, 16, 1
	s_delay_alu instid0(VALU_DEP_1)
	v_add3_u32 v10, v1, v3, 0x7fff
                                        ; implicit-def: $vgpr1
; %bb.119:
	s_and_not1_saveexec_b32 s3, s1
; %bb.120:
	v_and_b32_e32 v3, 0xffff, v1
	v_or_b32_e32 v9, 0x10000, v1
	s_delay_alu instid0(VALU_DEP_2) | instskip(NEXT) | instid1(VALU_DEP_1)
	v_cmp_eq_u32_e64 s1, 0, v3
	v_cndmask_b32_e64 v10, v9, v1, s1
; %bb.121:
	s_or_b32 exec_lo, exec_lo, s3
	v_mul_lo_u32 v0, v0, s21
	v_and_b32_e32 v9, 0xffff0000, v2
	s_delay_alu instid0(VALU_DEP_3) | instskip(SKIP_1) | instid1(VALU_DEP_3)
	v_and_b32_e32 v10, 0xffff0000, v10
	s_mov_b32 s3, 0
	v_ashrrev_i32_e32 v1, 31, v0
	s_delay_alu instid0(VALU_DEP_1) | instskip(NEXT) | instid1(VALU_DEP_1)
	v_lshlrev_b64 v[0:1], 1, v[0:1]
	v_add_co_u32 v0, s1, v12, v0
	s_delay_alu instid0(VALU_DEP_1)
	v_add_co_ci_u32_e64 v1, s1, v13, v1, s1
	global_load_b32 v3, v[0:1], off
	s_branch .LBB9_123
.LBB9_122:                              ;   in Loop: Header=BB9_123 Depth=1
	s_or_b32 exec_lo, exec_lo, s4
	v_lshrrev_b32_e32 v2, 16, v2
	s_delay_alu instid0(VALU_DEP_1) | instskip(SKIP_4) | instid1(VALU_DEP_2)
	v_and_or_b32 v2, 0xffff0000, v16, v2
	global_atomic_cmpswap_b32 v2, v[0:1], v[2:3], off glc
	s_waitcnt vmcnt(0)
	v_cmp_eq_u32_e64 s1, v2, v3
	v_mov_b32_e32 v3, v2
	s_or_b32 s3, s1, s3
	s_delay_alu instid0(SALU_CYCLE_1)
	s_and_not1_b32 exec_lo, exec_lo, s3
	s_cbranch_execz .LBB9_131
.LBB9_123:                              ; =>This Inner Loop Header: Depth=1
	s_waitcnt vmcnt(0)
	v_lshlrev_b32_e32 v2, 16, v3
	s_delay_alu instid0(VALU_DEP_1) | instskip(NEXT) | instid1(VALU_DEP_1)
	v_add_f32_e32 v15, v9, v2
	v_and_b32_e32 v2, 0x7f800000, v15
	s_delay_alu instid0(VALU_DEP_1) | instskip(NEXT) | instid1(VALU_DEP_1)
	v_cmp_ne_u32_e64 s1, 0x7f800000, v2
                                        ; implicit-def: $vgpr2
	s_and_saveexec_b32 s4, s1
	s_delay_alu instid0(SALU_CYCLE_1)
	s_xor_b32 s1, exec_lo, s4
; %bb.124:                              ;   in Loop: Header=BB9_123 Depth=1
	v_bfe_u32 v2, v15, 16, 1
	s_delay_alu instid0(VALU_DEP_1)
	v_add3_u32 v2, v15, v2, 0x7fff
                                        ; implicit-def: $vgpr15
; %bb.125:                              ;   in Loop: Header=BB9_123 Depth=1
	s_and_not1_saveexec_b32 s4, s1
; %bb.126:                              ;   in Loop: Header=BB9_123 Depth=1
	v_and_b32_e32 v2, 0xffff, v15
	v_or_b32_e32 v16, 0x10000, v15
	s_delay_alu instid0(VALU_DEP_2) | instskip(NEXT) | instid1(VALU_DEP_1)
	v_cmp_eq_u32_e64 s1, 0, v2
	v_cndmask_b32_e64 v2, v16, v15, s1
; %bb.127:                              ;   in Loop: Header=BB9_123 Depth=1
	s_or_b32 exec_lo, exec_lo, s4
	v_and_b32_e32 v15, 0xffff0000, v3
	s_delay_alu instid0(VALU_DEP_1) | instskip(NEXT) | instid1(VALU_DEP_1)
	v_add_f32_e32 v15, v10, v15
	v_and_b32_e32 v16, 0x7f800000, v15
	s_delay_alu instid0(VALU_DEP_1) | instskip(NEXT) | instid1(VALU_DEP_1)
	v_cmp_ne_u32_e64 s1, 0x7f800000, v16
                                        ; implicit-def: $vgpr16
	s_and_saveexec_b32 s4, s1
	s_delay_alu instid0(SALU_CYCLE_1)
	s_xor_b32 s1, exec_lo, s4
; %bb.128:                              ;   in Loop: Header=BB9_123 Depth=1
	v_bfe_u32 v16, v15, 16, 1
	s_delay_alu instid0(VALU_DEP_1)
	v_add3_u32 v16, v15, v16, 0x7fff
                                        ; implicit-def: $vgpr15
; %bb.129:                              ;   in Loop: Header=BB9_123 Depth=1
	s_and_not1_saveexec_b32 s4, s1
	s_cbranch_execz .LBB9_122
; %bb.130:                              ;   in Loop: Header=BB9_123 Depth=1
	v_and_b32_e32 v16, 0xffff, v15
	v_or_b32_e32 v17, 0x10000, v15
	s_delay_alu instid0(VALU_DEP_2) | instskip(NEXT) | instid1(VALU_DEP_1)
	v_cmp_eq_u32_e64 s1, 0, v16
	v_cndmask_b32_e64 v16, v17, v15, s1
	s_branch .LBB9_122
.LBB9_131:
	s_or_b32 exec_lo, exec_lo, s2
	s_waitcnt lgkmcnt(0)
	ds_bpermute_b32 v1, v14, v4
	s_and_saveexec_b32 s2, s0
	s_cbranch_execz .LBB9_151
; %bb.132:
	v_add3_u32 v0, v11, v21, 6
	s_delay_alu instid0(VALU_DEP_1) | instskip(NEXT) | instid1(VALU_DEP_1)
	v_cmp_gt_i32_e64 s1, s20, v0
	s_and_b32 s1, s1, vcc_lo
	s_delay_alu instid0(SALU_CYCLE_1)
	s_and_b32 exec_lo, exec_lo, s1
	s_cbranch_execz .LBB9_151
; %bb.133:
	v_and_b32_e32 v2, 0x7f800000, v4
	s_delay_alu instid0(VALU_DEP_1) | instskip(NEXT) | instid1(VALU_DEP_1)
	v_cmp_ne_u32_e64 s1, 0x7f800000, v2
                                        ; implicit-def: $vgpr2
	s_and_saveexec_b32 s3, s1
	s_delay_alu instid0(SALU_CYCLE_1)
	s_xor_b32 s1, exec_lo, s3
; %bb.134:
	v_bfe_u32 v2, v4, 16, 1
	s_delay_alu instid0(VALU_DEP_1)
	v_add3_u32 v2, v4, v2, 0x7fff
; %bb.135:
	s_and_not1_saveexec_b32 s3, s1
; %bb.136:
	v_and_b32_e32 v2, 0xffff, v4
	v_or_b32_e32 v3, 0x10000, v4
	s_delay_alu instid0(VALU_DEP_2) | instskip(NEXT) | instid1(VALU_DEP_1)
	v_cmp_eq_u32_e64 s1, 0, v2
	v_cndmask_b32_e64 v2, v3, v4, s1
; %bb.137:
	s_or_b32 exec_lo, exec_lo, s3
	s_waitcnt lgkmcnt(0)
	v_and_b32_e32 v3, 0x7f800000, v1
                                        ; implicit-def: $vgpr9
	s_delay_alu instid0(VALU_DEP_1) | instskip(NEXT) | instid1(VALU_DEP_1)
	v_cmp_ne_u32_e64 s1, 0x7f800000, v3
	s_and_saveexec_b32 s3, s1
	s_delay_alu instid0(SALU_CYCLE_1)
	s_xor_b32 s1, exec_lo, s3
; %bb.138:
	v_bfe_u32 v3, v1, 16, 1
	s_delay_alu instid0(VALU_DEP_1)
	v_add3_u32 v9, v1, v3, 0x7fff
                                        ; implicit-def: $vgpr1
; %bb.139:
	s_and_not1_saveexec_b32 s3, s1
; %bb.140:
	v_and_b32_e32 v3, 0xffff, v1
	v_or_b32_e32 v4, 0x10000, v1
	s_delay_alu instid0(VALU_DEP_2) | instskip(NEXT) | instid1(VALU_DEP_1)
	v_cmp_eq_u32_e64 s1, 0, v3
	v_cndmask_b32_e64 v9, v4, v1, s1
; %bb.141:
	s_or_b32 exec_lo, exec_lo, s3
	v_mul_lo_u32 v0, v0, s21
	v_and_b32_e32 v4, 0xffff0000, v2
	s_delay_alu instid0(VALU_DEP_3) | instskip(SKIP_1) | instid1(VALU_DEP_3)
	v_and_b32_e32 v9, 0xffff0000, v9
	s_mov_b32 s3, 0
	v_ashrrev_i32_e32 v1, 31, v0
	s_delay_alu instid0(VALU_DEP_1) | instskip(NEXT) | instid1(VALU_DEP_1)
	v_lshlrev_b64 v[0:1], 1, v[0:1]
	v_add_co_u32 v0, s1, v12, v0
	s_delay_alu instid0(VALU_DEP_1)
	v_add_co_ci_u32_e64 v1, s1, v13, v1, s1
	global_load_b32 v3, v[0:1], off
	s_branch .LBB9_143
.LBB9_142:                              ;   in Loop: Header=BB9_143 Depth=1
	s_or_b32 exec_lo, exec_lo, s4
	v_lshrrev_b32_e32 v2, 16, v2
	s_delay_alu instid0(VALU_DEP_1) | instskip(SKIP_4) | instid1(VALU_DEP_2)
	v_and_or_b32 v2, 0xffff0000, v15, v2
	global_atomic_cmpswap_b32 v2, v[0:1], v[2:3], off glc
	s_waitcnt vmcnt(0)
	v_cmp_eq_u32_e64 s1, v2, v3
	v_mov_b32_e32 v3, v2
	s_or_b32 s3, s1, s3
	s_delay_alu instid0(SALU_CYCLE_1)
	s_and_not1_b32 exec_lo, exec_lo, s3
	s_cbranch_execz .LBB9_151
.LBB9_143:                              ; =>This Inner Loop Header: Depth=1
	s_waitcnt vmcnt(0)
	v_lshlrev_b32_e32 v2, 16, v3
	s_delay_alu instid0(VALU_DEP_1) | instskip(NEXT) | instid1(VALU_DEP_1)
	v_add_f32_e32 v10, v4, v2
	v_and_b32_e32 v2, 0x7f800000, v10
	s_delay_alu instid0(VALU_DEP_1) | instskip(NEXT) | instid1(VALU_DEP_1)
	v_cmp_ne_u32_e64 s1, 0x7f800000, v2
                                        ; implicit-def: $vgpr2
	s_and_saveexec_b32 s4, s1
	s_delay_alu instid0(SALU_CYCLE_1)
	s_xor_b32 s1, exec_lo, s4
; %bb.144:                              ;   in Loop: Header=BB9_143 Depth=1
	v_bfe_u32 v2, v10, 16, 1
	s_delay_alu instid0(VALU_DEP_1)
	v_add3_u32 v2, v10, v2, 0x7fff
                                        ; implicit-def: $vgpr10
; %bb.145:                              ;   in Loop: Header=BB9_143 Depth=1
	s_and_not1_saveexec_b32 s4, s1
; %bb.146:                              ;   in Loop: Header=BB9_143 Depth=1
	v_and_b32_e32 v2, 0xffff, v10
	v_or_b32_e32 v15, 0x10000, v10
	s_delay_alu instid0(VALU_DEP_2) | instskip(NEXT) | instid1(VALU_DEP_1)
	v_cmp_eq_u32_e64 s1, 0, v2
	v_cndmask_b32_e64 v2, v15, v10, s1
; %bb.147:                              ;   in Loop: Header=BB9_143 Depth=1
	s_or_b32 exec_lo, exec_lo, s4
	v_and_b32_e32 v10, 0xffff0000, v3
	s_delay_alu instid0(VALU_DEP_1) | instskip(NEXT) | instid1(VALU_DEP_1)
	v_add_f32_e32 v10, v9, v10
	v_and_b32_e32 v15, 0x7f800000, v10
	s_delay_alu instid0(VALU_DEP_1) | instskip(NEXT) | instid1(VALU_DEP_1)
	v_cmp_ne_u32_e64 s1, 0x7f800000, v15
                                        ; implicit-def: $vgpr15
	s_and_saveexec_b32 s4, s1
	s_delay_alu instid0(SALU_CYCLE_1)
	s_xor_b32 s1, exec_lo, s4
; %bb.148:                              ;   in Loop: Header=BB9_143 Depth=1
	v_bfe_u32 v15, v10, 16, 1
	s_delay_alu instid0(VALU_DEP_1)
	v_add3_u32 v15, v10, v15, 0x7fff
                                        ; implicit-def: $vgpr10
; %bb.149:                              ;   in Loop: Header=BB9_143 Depth=1
	s_and_not1_saveexec_b32 s4, s1
	s_cbranch_execz .LBB9_142
; %bb.150:                              ;   in Loop: Header=BB9_143 Depth=1
	v_and_b32_e32 v15, 0xffff, v10
	v_or_b32_e32 v16, 0x10000, v10
	s_delay_alu instid0(VALU_DEP_2) | instskip(NEXT) | instid1(VALU_DEP_1)
	v_cmp_eq_u32_e64 s1, 0, v15
	v_cndmask_b32_e64 v15, v16, v10, s1
	s_branch .LBB9_142
.LBB9_151:
	s_or_b32 exec_lo, exec_lo, s2
	s_waitcnt lgkmcnt(0)
	ds_bpermute_b32 v1, v14, v5
	s_and_saveexec_b32 s2, s0
	s_cbranch_execz .LBB9_171
; %bb.152:
	v_add3_u32 v0, v11, v21, 8
	s_delay_alu instid0(VALU_DEP_1) | instskip(NEXT) | instid1(VALU_DEP_1)
	v_cmp_gt_i32_e64 s1, s20, v0
	s_and_b32 s1, s1, vcc_lo
	s_delay_alu instid0(SALU_CYCLE_1)
	s_and_b32 exec_lo, exec_lo, s1
	s_cbranch_execz .LBB9_171
; %bb.153:
	v_and_b32_e32 v2, 0x7f800000, v5
	s_delay_alu instid0(VALU_DEP_1) | instskip(NEXT) | instid1(VALU_DEP_1)
	v_cmp_ne_u32_e64 s1, 0x7f800000, v2
                                        ; implicit-def: $vgpr2
	s_and_saveexec_b32 s3, s1
	s_delay_alu instid0(SALU_CYCLE_1)
	s_xor_b32 s1, exec_lo, s3
; %bb.154:
	v_bfe_u32 v2, v5, 16, 1
	s_delay_alu instid0(VALU_DEP_1)
	v_add3_u32 v2, v5, v2, 0x7fff
; %bb.155:
	s_and_not1_saveexec_b32 s3, s1
; %bb.156:
	v_and_b32_e32 v2, 0xffff, v5
	v_or_b32_e32 v3, 0x10000, v5
	s_delay_alu instid0(VALU_DEP_2) | instskip(NEXT) | instid1(VALU_DEP_1)
	v_cmp_eq_u32_e64 s1, 0, v2
	v_cndmask_b32_e64 v2, v3, v5, s1
; %bb.157:
	s_or_b32 exec_lo, exec_lo, s3
	s_waitcnt lgkmcnt(0)
	v_and_b32_e32 v3, 0x7f800000, v1
                                        ; implicit-def: $vgpr5
	s_delay_alu instid0(VALU_DEP_1) | instskip(NEXT) | instid1(VALU_DEP_1)
	v_cmp_ne_u32_e64 s1, 0x7f800000, v3
	s_and_saveexec_b32 s3, s1
	s_delay_alu instid0(SALU_CYCLE_1)
	s_xor_b32 s1, exec_lo, s3
; %bb.158:
	v_bfe_u32 v3, v1, 16, 1
	s_delay_alu instid0(VALU_DEP_1)
	v_add3_u32 v5, v1, v3, 0x7fff
                                        ; implicit-def: $vgpr1
; %bb.159:
	s_and_not1_saveexec_b32 s3, s1
; %bb.160:
	v_and_b32_e32 v3, 0xffff, v1
	v_or_b32_e32 v4, 0x10000, v1
	s_delay_alu instid0(VALU_DEP_2) | instskip(NEXT) | instid1(VALU_DEP_1)
	v_cmp_eq_u32_e64 s1, 0, v3
	v_cndmask_b32_e64 v5, v4, v1, s1
; %bb.161:
	s_or_b32 exec_lo, exec_lo, s3
	v_mul_lo_u32 v0, v0, s21
	v_and_b32_e32 v4, 0xffff0000, v2
	s_delay_alu instid0(VALU_DEP_3) | instskip(SKIP_1) | instid1(VALU_DEP_3)
	v_and_b32_e32 v5, 0xffff0000, v5
	s_mov_b32 s3, 0
	v_ashrrev_i32_e32 v1, 31, v0
	s_delay_alu instid0(VALU_DEP_1) | instskip(NEXT) | instid1(VALU_DEP_1)
	v_lshlrev_b64 v[0:1], 1, v[0:1]
	v_add_co_u32 v0, s1, v12, v0
	s_delay_alu instid0(VALU_DEP_1)
	v_add_co_ci_u32_e64 v1, s1, v13, v1, s1
	global_load_b32 v3, v[0:1], off
	s_branch .LBB9_163
.LBB9_162:                              ;   in Loop: Header=BB9_163 Depth=1
	s_or_b32 exec_lo, exec_lo, s4
	v_lshrrev_b32_e32 v2, 16, v2
	s_delay_alu instid0(VALU_DEP_1) | instskip(SKIP_4) | instid1(VALU_DEP_2)
	v_and_or_b32 v2, 0xffff0000, v10, v2
	global_atomic_cmpswap_b32 v2, v[0:1], v[2:3], off glc
	s_waitcnt vmcnt(0)
	v_cmp_eq_u32_e64 s1, v2, v3
	v_mov_b32_e32 v3, v2
	s_or_b32 s3, s1, s3
	s_delay_alu instid0(SALU_CYCLE_1)
	s_and_not1_b32 exec_lo, exec_lo, s3
	s_cbranch_execz .LBB9_171
.LBB9_163:                              ; =>This Inner Loop Header: Depth=1
	s_waitcnt vmcnt(0)
	v_lshlrev_b32_e32 v2, 16, v3
	s_delay_alu instid0(VALU_DEP_1) | instskip(NEXT) | instid1(VALU_DEP_1)
	v_add_f32_e32 v9, v4, v2
	v_and_b32_e32 v2, 0x7f800000, v9
	s_delay_alu instid0(VALU_DEP_1) | instskip(NEXT) | instid1(VALU_DEP_1)
	v_cmp_ne_u32_e64 s1, 0x7f800000, v2
                                        ; implicit-def: $vgpr2
	s_and_saveexec_b32 s4, s1
	s_delay_alu instid0(SALU_CYCLE_1)
	s_xor_b32 s1, exec_lo, s4
; %bb.164:                              ;   in Loop: Header=BB9_163 Depth=1
	v_bfe_u32 v2, v9, 16, 1
	s_delay_alu instid0(VALU_DEP_1)
	v_add3_u32 v2, v9, v2, 0x7fff
                                        ; implicit-def: $vgpr9
; %bb.165:                              ;   in Loop: Header=BB9_163 Depth=1
	s_and_not1_saveexec_b32 s4, s1
; %bb.166:                              ;   in Loop: Header=BB9_163 Depth=1
	v_and_b32_e32 v2, 0xffff, v9
	v_or_b32_e32 v10, 0x10000, v9
	s_delay_alu instid0(VALU_DEP_2) | instskip(NEXT) | instid1(VALU_DEP_1)
	v_cmp_eq_u32_e64 s1, 0, v2
	v_cndmask_b32_e64 v2, v10, v9, s1
; %bb.167:                              ;   in Loop: Header=BB9_163 Depth=1
	s_or_b32 exec_lo, exec_lo, s4
	v_and_b32_e32 v9, 0xffff0000, v3
	s_delay_alu instid0(VALU_DEP_1) | instskip(NEXT) | instid1(VALU_DEP_1)
	v_add_f32_e32 v9, v5, v9
	v_and_b32_e32 v10, 0x7f800000, v9
	s_delay_alu instid0(VALU_DEP_1) | instskip(NEXT) | instid1(VALU_DEP_1)
	v_cmp_ne_u32_e64 s1, 0x7f800000, v10
                                        ; implicit-def: $vgpr10
	s_and_saveexec_b32 s4, s1
	s_delay_alu instid0(SALU_CYCLE_1)
	s_xor_b32 s1, exec_lo, s4
; %bb.168:                              ;   in Loop: Header=BB9_163 Depth=1
	v_bfe_u32 v10, v9, 16, 1
	s_delay_alu instid0(VALU_DEP_1)
	v_add3_u32 v10, v9, v10, 0x7fff
                                        ; implicit-def: $vgpr9
; %bb.169:                              ;   in Loop: Header=BB9_163 Depth=1
	s_and_not1_saveexec_b32 s4, s1
	s_cbranch_execz .LBB9_162
; %bb.170:                              ;   in Loop: Header=BB9_163 Depth=1
	v_and_b32_e32 v10, 0xffff, v9
	v_or_b32_e32 v15, 0x10000, v9
	s_delay_alu instid0(VALU_DEP_2) | instskip(NEXT) | instid1(VALU_DEP_1)
	v_cmp_eq_u32_e64 s1, 0, v10
	v_cndmask_b32_e64 v10, v15, v9, s1
	s_branch .LBB9_162
.LBB9_171:
	s_or_b32 exec_lo, exec_lo, s2
	s_waitcnt lgkmcnt(0)
	ds_bpermute_b32 v1, v14, v6
	s_and_saveexec_b32 s2, s0
	s_cbranch_execz .LBB9_191
; %bb.172:
	v_add3_u32 v0, v11, v21, 10
	s_delay_alu instid0(VALU_DEP_1) | instskip(NEXT) | instid1(VALU_DEP_1)
	v_cmp_gt_i32_e64 s1, s20, v0
	s_and_b32 s1, s1, vcc_lo
	s_delay_alu instid0(SALU_CYCLE_1)
	s_and_b32 exec_lo, exec_lo, s1
	s_cbranch_execz .LBB9_191
; %bb.173:
	v_and_b32_e32 v2, 0x7f800000, v6
	s_delay_alu instid0(VALU_DEP_1) | instskip(NEXT) | instid1(VALU_DEP_1)
	v_cmp_ne_u32_e64 s1, 0x7f800000, v2
                                        ; implicit-def: $vgpr2
	s_and_saveexec_b32 s3, s1
	s_delay_alu instid0(SALU_CYCLE_1)
	s_xor_b32 s1, exec_lo, s3
; %bb.174:
	v_bfe_u32 v2, v6, 16, 1
	s_delay_alu instid0(VALU_DEP_1)
	v_add3_u32 v2, v6, v2, 0x7fff
; %bb.175:
	s_and_not1_saveexec_b32 s3, s1
; %bb.176:
	v_and_b32_e32 v2, 0xffff, v6
	v_or_b32_e32 v3, 0x10000, v6
	s_delay_alu instid0(VALU_DEP_2) | instskip(NEXT) | instid1(VALU_DEP_1)
	v_cmp_eq_u32_e64 s1, 0, v2
	v_cndmask_b32_e64 v2, v3, v6, s1
; %bb.177:
	s_or_b32 exec_lo, exec_lo, s3
	s_waitcnt lgkmcnt(0)
	v_and_b32_e32 v3, 0x7f800000, v1
                                        ; implicit-def: $vgpr5
	s_delay_alu instid0(VALU_DEP_1) | instskip(NEXT) | instid1(VALU_DEP_1)
	v_cmp_ne_u32_e64 s1, 0x7f800000, v3
	s_and_saveexec_b32 s3, s1
	s_delay_alu instid0(SALU_CYCLE_1)
	s_xor_b32 s1, exec_lo, s3
; %bb.178:
	v_bfe_u32 v3, v1, 16, 1
	s_delay_alu instid0(VALU_DEP_1)
	v_add3_u32 v5, v1, v3, 0x7fff
                                        ; implicit-def: $vgpr1
; %bb.179:
	s_and_not1_saveexec_b32 s3, s1
; %bb.180:
	v_and_b32_e32 v3, 0xffff, v1
	v_or_b32_e32 v4, 0x10000, v1
	s_delay_alu instid0(VALU_DEP_2) | instskip(NEXT) | instid1(VALU_DEP_1)
	v_cmp_eq_u32_e64 s1, 0, v3
	v_cndmask_b32_e64 v5, v4, v1, s1
; %bb.181:
	s_or_b32 exec_lo, exec_lo, s3
	v_mul_lo_u32 v0, v0, s21
	v_and_b32_e32 v4, 0xffff0000, v2
	s_delay_alu instid0(VALU_DEP_3) | instskip(SKIP_1) | instid1(VALU_DEP_3)
	v_and_b32_e32 v5, 0xffff0000, v5
	s_mov_b32 s3, 0
	v_ashrrev_i32_e32 v1, 31, v0
	s_delay_alu instid0(VALU_DEP_1) | instskip(NEXT) | instid1(VALU_DEP_1)
	v_lshlrev_b64 v[0:1], 1, v[0:1]
	v_add_co_u32 v0, s1, v12, v0
	s_delay_alu instid0(VALU_DEP_1)
	v_add_co_ci_u32_e64 v1, s1, v13, v1, s1
	global_load_b32 v3, v[0:1], off
	s_branch .LBB9_183
.LBB9_182:                              ;   in Loop: Header=BB9_183 Depth=1
	s_or_b32 exec_lo, exec_lo, s4
	v_lshrrev_b32_e32 v2, 16, v2
	s_delay_alu instid0(VALU_DEP_1) | instskip(SKIP_4) | instid1(VALU_DEP_2)
	v_and_or_b32 v2, 0xffff0000, v9, v2
	global_atomic_cmpswap_b32 v2, v[0:1], v[2:3], off glc
	s_waitcnt vmcnt(0)
	v_cmp_eq_u32_e64 s1, v2, v3
	v_mov_b32_e32 v3, v2
	s_or_b32 s3, s1, s3
	s_delay_alu instid0(SALU_CYCLE_1)
	s_and_not1_b32 exec_lo, exec_lo, s3
	s_cbranch_execz .LBB9_191
.LBB9_183:                              ; =>This Inner Loop Header: Depth=1
	s_waitcnt vmcnt(0)
	v_lshlrev_b32_e32 v2, 16, v3
	s_delay_alu instid0(VALU_DEP_1) | instskip(NEXT) | instid1(VALU_DEP_1)
	v_add_f32_e32 v6, v4, v2
	v_and_b32_e32 v2, 0x7f800000, v6
	s_delay_alu instid0(VALU_DEP_1) | instskip(NEXT) | instid1(VALU_DEP_1)
	v_cmp_ne_u32_e64 s1, 0x7f800000, v2
                                        ; implicit-def: $vgpr2
	s_and_saveexec_b32 s4, s1
	s_delay_alu instid0(SALU_CYCLE_1)
	s_xor_b32 s1, exec_lo, s4
; %bb.184:                              ;   in Loop: Header=BB9_183 Depth=1
	v_bfe_u32 v2, v6, 16, 1
	s_delay_alu instid0(VALU_DEP_1)
	v_add3_u32 v2, v6, v2, 0x7fff
                                        ; implicit-def: $vgpr6
; %bb.185:                              ;   in Loop: Header=BB9_183 Depth=1
	s_and_not1_saveexec_b32 s4, s1
; %bb.186:                              ;   in Loop: Header=BB9_183 Depth=1
	v_and_b32_e32 v2, 0xffff, v6
	v_or_b32_e32 v9, 0x10000, v6
	s_delay_alu instid0(VALU_DEP_2) | instskip(NEXT) | instid1(VALU_DEP_1)
	v_cmp_eq_u32_e64 s1, 0, v2
	v_cndmask_b32_e64 v2, v9, v6, s1
; %bb.187:                              ;   in Loop: Header=BB9_183 Depth=1
	s_or_b32 exec_lo, exec_lo, s4
	v_and_b32_e32 v6, 0xffff0000, v3
	s_delay_alu instid0(VALU_DEP_1) | instskip(NEXT) | instid1(VALU_DEP_1)
	v_add_f32_e32 v6, v5, v6
	v_and_b32_e32 v9, 0x7f800000, v6
	s_delay_alu instid0(VALU_DEP_1) | instskip(NEXT) | instid1(VALU_DEP_1)
	v_cmp_ne_u32_e64 s1, 0x7f800000, v9
                                        ; implicit-def: $vgpr9
	s_and_saveexec_b32 s4, s1
	s_delay_alu instid0(SALU_CYCLE_1)
	s_xor_b32 s1, exec_lo, s4
; %bb.188:                              ;   in Loop: Header=BB9_183 Depth=1
	v_bfe_u32 v9, v6, 16, 1
	s_delay_alu instid0(VALU_DEP_1)
	v_add3_u32 v9, v6, v9, 0x7fff
                                        ; implicit-def: $vgpr6
; %bb.189:                              ;   in Loop: Header=BB9_183 Depth=1
	s_and_not1_saveexec_b32 s4, s1
	s_cbranch_execz .LBB9_182
; %bb.190:                              ;   in Loop: Header=BB9_183 Depth=1
	v_and_b32_e32 v9, 0xffff, v6
	v_or_b32_e32 v10, 0x10000, v6
	s_delay_alu instid0(VALU_DEP_2) | instskip(NEXT) | instid1(VALU_DEP_1)
	v_cmp_eq_u32_e64 s1, 0, v9
	v_cndmask_b32_e64 v9, v10, v6, s1
	s_branch .LBB9_182
.LBB9_191:
	s_or_b32 exec_lo, exec_lo, s2
	s_waitcnt lgkmcnt(0)
	ds_bpermute_b32 v1, v14, v7
	s_and_saveexec_b32 s2, s0
	s_cbranch_execz .LBB9_211
; %bb.192:
	v_add3_u32 v0, v11, v21, 12
	s_delay_alu instid0(VALU_DEP_1) | instskip(NEXT) | instid1(VALU_DEP_1)
	v_cmp_gt_i32_e64 s1, s20, v0
	s_and_b32 s1, s1, vcc_lo
	s_delay_alu instid0(SALU_CYCLE_1)
	s_and_b32 exec_lo, exec_lo, s1
	s_cbranch_execz .LBB9_211
; %bb.193:
	v_and_b32_e32 v2, 0x7f800000, v7
	s_delay_alu instid0(VALU_DEP_1) | instskip(NEXT) | instid1(VALU_DEP_1)
	v_cmp_ne_u32_e64 s1, 0x7f800000, v2
                                        ; implicit-def: $vgpr2
	s_and_saveexec_b32 s3, s1
	s_delay_alu instid0(SALU_CYCLE_1)
	s_xor_b32 s1, exec_lo, s3
; %bb.194:
	v_bfe_u32 v2, v7, 16, 1
	s_delay_alu instid0(VALU_DEP_1)
	v_add3_u32 v2, v7, v2, 0x7fff
; %bb.195:
	s_and_not1_saveexec_b32 s3, s1
; %bb.196:
	v_and_b32_e32 v2, 0xffff, v7
	v_or_b32_e32 v3, 0x10000, v7
	s_delay_alu instid0(VALU_DEP_2) | instskip(NEXT) | instid1(VALU_DEP_1)
	v_cmp_eq_u32_e64 s1, 0, v2
	v_cndmask_b32_e64 v2, v3, v7, s1
; %bb.197:
	s_or_b32 exec_lo, exec_lo, s3
	s_waitcnt lgkmcnt(0)
	v_and_b32_e32 v3, 0x7f800000, v1
                                        ; implicit-def: $vgpr5
	s_delay_alu instid0(VALU_DEP_1) | instskip(NEXT) | instid1(VALU_DEP_1)
	v_cmp_ne_u32_e64 s1, 0x7f800000, v3
	s_and_saveexec_b32 s3, s1
	s_delay_alu instid0(SALU_CYCLE_1)
	s_xor_b32 s1, exec_lo, s3
; %bb.198:
	v_bfe_u32 v3, v1, 16, 1
	s_delay_alu instid0(VALU_DEP_1)
	v_add3_u32 v5, v1, v3, 0x7fff
                                        ; implicit-def: $vgpr1
; %bb.199:
	s_and_not1_saveexec_b32 s3, s1
; %bb.200:
	v_and_b32_e32 v3, 0xffff, v1
	v_or_b32_e32 v4, 0x10000, v1
	s_delay_alu instid0(VALU_DEP_2) | instskip(NEXT) | instid1(VALU_DEP_1)
	v_cmp_eq_u32_e64 s1, 0, v3
	v_cndmask_b32_e64 v5, v4, v1, s1
; %bb.201:
	s_or_b32 exec_lo, exec_lo, s3
	v_mul_lo_u32 v0, v0, s21
	v_and_b32_e32 v4, 0xffff0000, v2
	s_delay_alu instid0(VALU_DEP_3) | instskip(SKIP_1) | instid1(VALU_DEP_3)
	v_and_b32_e32 v5, 0xffff0000, v5
	s_mov_b32 s3, 0
	v_ashrrev_i32_e32 v1, 31, v0
	s_delay_alu instid0(VALU_DEP_1) | instskip(NEXT) | instid1(VALU_DEP_1)
	v_lshlrev_b64 v[0:1], 1, v[0:1]
	v_add_co_u32 v0, s1, v12, v0
	s_delay_alu instid0(VALU_DEP_1)
	v_add_co_ci_u32_e64 v1, s1, v13, v1, s1
	global_load_b32 v3, v[0:1], off
	s_branch .LBB9_203
.LBB9_202:                              ;   in Loop: Header=BB9_203 Depth=1
	s_or_b32 exec_lo, exec_lo, s4
	v_lshrrev_b32_e32 v2, 16, v2
	s_delay_alu instid0(VALU_DEP_1) | instskip(SKIP_4) | instid1(VALU_DEP_2)
	v_and_or_b32 v2, 0xffff0000, v7, v2
	global_atomic_cmpswap_b32 v2, v[0:1], v[2:3], off glc
	s_waitcnt vmcnt(0)
	v_cmp_eq_u32_e64 s1, v2, v3
	v_mov_b32_e32 v3, v2
	s_or_b32 s3, s1, s3
	s_delay_alu instid0(SALU_CYCLE_1)
	s_and_not1_b32 exec_lo, exec_lo, s3
	s_cbranch_execz .LBB9_211
.LBB9_203:                              ; =>This Inner Loop Header: Depth=1
	s_waitcnt vmcnt(0)
	v_lshlrev_b32_e32 v2, 16, v3
	s_delay_alu instid0(VALU_DEP_1) | instskip(NEXT) | instid1(VALU_DEP_1)
	v_add_f32_e32 v6, v4, v2
	v_and_b32_e32 v2, 0x7f800000, v6
	s_delay_alu instid0(VALU_DEP_1) | instskip(NEXT) | instid1(VALU_DEP_1)
	v_cmp_ne_u32_e64 s1, 0x7f800000, v2
                                        ; implicit-def: $vgpr2
	s_and_saveexec_b32 s4, s1
	s_delay_alu instid0(SALU_CYCLE_1)
	s_xor_b32 s1, exec_lo, s4
; %bb.204:                              ;   in Loop: Header=BB9_203 Depth=1
	v_bfe_u32 v2, v6, 16, 1
	s_delay_alu instid0(VALU_DEP_1)
	v_add3_u32 v2, v6, v2, 0x7fff
                                        ; implicit-def: $vgpr6
; %bb.205:                              ;   in Loop: Header=BB9_203 Depth=1
	s_and_not1_saveexec_b32 s4, s1
; %bb.206:                              ;   in Loop: Header=BB9_203 Depth=1
	v_and_b32_e32 v2, 0xffff, v6
	v_or_b32_e32 v7, 0x10000, v6
	s_delay_alu instid0(VALU_DEP_2) | instskip(NEXT) | instid1(VALU_DEP_1)
	v_cmp_eq_u32_e64 s1, 0, v2
	v_cndmask_b32_e64 v2, v7, v6, s1
; %bb.207:                              ;   in Loop: Header=BB9_203 Depth=1
	s_or_b32 exec_lo, exec_lo, s4
	v_and_b32_e32 v6, 0xffff0000, v3
	s_delay_alu instid0(VALU_DEP_1) | instskip(NEXT) | instid1(VALU_DEP_1)
	v_add_f32_e32 v6, v5, v6
	v_and_b32_e32 v7, 0x7f800000, v6
	s_delay_alu instid0(VALU_DEP_1) | instskip(NEXT) | instid1(VALU_DEP_1)
	v_cmp_ne_u32_e64 s1, 0x7f800000, v7
                                        ; implicit-def: $vgpr7
	s_and_saveexec_b32 s4, s1
	s_delay_alu instid0(SALU_CYCLE_1)
	s_xor_b32 s1, exec_lo, s4
; %bb.208:                              ;   in Loop: Header=BB9_203 Depth=1
	v_bfe_u32 v7, v6, 16, 1
	s_delay_alu instid0(VALU_DEP_1)
	v_add3_u32 v7, v6, v7, 0x7fff
                                        ; implicit-def: $vgpr6
; %bb.209:                              ;   in Loop: Header=BB9_203 Depth=1
	s_and_not1_saveexec_b32 s4, s1
	s_cbranch_execz .LBB9_202
; %bb.210:                              ;   in Loop: Header=BB9_203 Depth=1
	v_and_b32_e32 v7, 0xffff, v6
	v_or_b32_e32 v9, 0x10000, v6
	s_delay_alu instid0(VALU_DEP_2) | instskip(NEXT) | instid1(VALU_DEP_1)
	v_cmp_eq_u32_e64 s1, 0, v7
	v_cndmask_b32_e64 v7, v9, v6, s1
	s_branch .LBB9_202
.LBB9_211:
	s_or_b32 exec_lo, exec_lo, s2
	ds_bpermute_b32 v9, v14, v8
	s_and_saveexec_b32 s1, s0
	s_cbranch_execz .LBB9_231
; %bb.212:
	v_add3_u32 v0, v11, v21, 14
	s_delay_alu instid0(VALU_DEP_1) | instskip(NEXT) | instid1(VALU_DEP_1)
	v_cmp_gt_i32_e64 s0, s20, v0
	s_and_b32 s0, s0, vcc_lo
	s_delay_alu instid0(SALU_CYCLE_1)
	s_and_b32 exec_lo, exec_lo, s0
	s_cbranch_execz .LBB9_231
; %bb.213:
	s_waitcnt lgkmcnt(1)
	v_and_b32_e32 v1, 0x7f800000, v8
	s_mov_b32 s0, exec_lo
                                        ; implicit-def: $vgpr10
	s_delay_alu instid0(VALU_DEP_1)
	v_cmpx_ne_u32_e32 0x7f800000, v1
	s_xor_b32 s0, exec_lo, s0
; %bb.214:
	v_bfe_u32 v1, v8, 16, 1
	s_delay_alu instid0(VALU_DEP_1)
	v_add3_u32 v10, v8, v1, 0x7fff
                                        ; implicit-def: $vgpr1_vgpr2_vgpr3_vgpr4_vgpr5_vgpr6_vgpr7_vgpr8
; %bb.215:
	s_and_not1_saveexec_b32 s0, s0
; %bb.216:
	v_and_b32_e32 v1, 0xffff, v8
	v_or_b32_e32 v2, 0x10000, v8
	s_delay_alu instid0(VALU_DEP_2) | instskip(NEXT) | instid1(VALU_DEP_2)
	v_cmp_eq_u32_e32 vcc_lo, 0, v1
	v_cndmask_b32_e32 v10, v2, v8, vcc_lo
; %bb.217:
	s_or_b32 exec_lo, exec_lo, s0
	s_waitcnt lgkmcnt(0)
	v_and_b32_e32 v1, 0x7f800000, v9
	s_mov_b32 s0, exec_lo
                                        ; implicit-def: $vgpr2
	s_delay_alu instid0(VALU_DEP_1)
	v_cmpx_ne_u32_e32 0x7f800000, v1
	s_xor_b32 s0, exec_lo, s0
; %bb.218:
	v_bfe_u32 v1, v9, 16, 1
	s_delay_alu instid0(VALU_DEP_1)
	v_add3_u32 v2, v9, v1, 0x7fff
                                        ; implicit-def: $vgpr9
; %bb.219:
	s_and_not1_saveexec_b32 s0, s0
; %bb.220:
	v_and_b32_e32 v1, 0xffff, v9
	v_or_b32_e32 v2, 0x10000, v9
	s_delay_alu instid0(VALU_DEP_2) | instskip(NEXT) | instid1(VALU_DEP_2)
	v_cmp_eq_u32_e32 vcc_lo, 0, v1
	v_cndmask_b32_e32 v2, v2, v9, vcc_lo
; %bb.221:
	s_or_b32 exec_lo, exec_lo, s0
	v_mul_lo_u32 v0, v0, s21
	v_and_b32_e32 v4, 0xffff0000, v10
	s_delay_alu instid0(VALU_DEP_3) | instskip(SKIP_1) | instid1(VALU_DEP_3)
	v_and_b32_e32 v5, 0xffff0000, v2
	s_mov_b32 s0, 0
	v_ashrrev_i32_e32 v1, 31, v0
	s_delay_alu instid0(VALU_DEP_1) | instskip(NEXT) | instid1(VALU_DEP_1)
	v_lshlrev_b64 v[0:1], 1, v[0:1]
	v_add_co_u32 v0, vcc_lo, v12, v0
	s_delay_alu instid0(VALU_DEP_2)
	v_add_co_ci_u32_e32 v1, vcc_lo, v13, v1, vcc_lo
	global_load_b32 v3, v[0:1], off
	s_branch .LBB9_223
.LBB9_222:                              ;   in Loop: Header=BB9_223 Depth=1
	s_or_b32 exec_lo, exec_lo, s1
	v_lshrrev_b32_e32 v2, 16, v2
	s_delay_alu instid0(VALU_DEP_1)
	v_and_or_b32 v2, 0xffff0000, v7, v2
	global_atomic_cmpswap_b32 v2, v[0:1], v[2:3], off glc
	s_waitcnt vmcnt(0)
	v_cmp_eq_u32_e32 vcc_lo, v2, v3
	v_mov_b32_e32 v3, v2
	s_or_b32 s0, vcc_lo, s0
	s_delay_alu instid0(SALU_CYCLE_1)
	s_and_not1_b32 exec_lo, exec_lo, s0
	s_cbranch_execz .LBB9_231
.LBB9_223:                              ; =>This Inner Loop Header: Depth=1
	s_waitcnt vmcnt(0)
	v_lshlrev_b32_e32 v2, 16, v3
	s_delay_alu instid0(VALU_DEP_1) | instskip(NEXT) | instid1(VALU_DEP_1)
	v_add_f32_e32 v6, v4, v2
	v_and_b32_e32 v2, 0x7f800000, v6
	s_delay_alu instid0(VALU_DEP_1) | instskip(SKIP_1) | instid1(SALU_CYCLE_1)
	v_cmp_ne_u32_e32 vcc_lo, 0x7f800000, v2
                                        ; implicit-def: $vgpr2
	s_and_saveexec_b32 s1, vcc_lo
	s_xor_b32 s1, exec_lo, s1
; %bb.224:                              ;   in Loop: Header=BB9_223 Depth=1
	v_bfe_u32 v2, v6, 16, 1
	s_delay_alu instid0(VALU_DEP_1)
	v_add3_u32 v2, v6, v2, 0x7fff
                                        ; implicit-def: $vgpr6
; %bb.225:                              ;   in Loop: Header=BB9_223 Depth=1
	s_and_not1_saveexec_b32 s1, s1
; %bb.226:                              ;   in Loop: Header=BB9_223 Depth=1
	v_and_b32_e32 v2, 0xffff, v6
	v_or_b32_e32 v7, 0x10000, v6
	s_delay_alu instid0(VALU_DEP_2) | instskip(NEXT) | instid1(VALU_DEP_2)
	v_cmp_eq_u32_e32 vcc_lo, 0, v2
	v_cndmask_b32_e32 v2, v7, v6, vcc_lo
; %bb.227:                              ;   in Loop: Header=BB9_223 Depth=1
	s_or_b32 exec_lo, exec_lo, s1
	v_and_b32_e32 v6, 0xffff0000, v3
	s_delay_alu instid0(VALU_DEP_1) | instskip(NEXT) | instid1(VALU_DEP_1)
	v_add_f32_e32 v6, v5, v6
	v_and_b32_e32 v7, 0x7f800000, v6
	s_delay_alu instid0(VALU_DEP_1) | instskip(SKIP_1) | instid1(SALU_CYCLE_1)
	v_cmp_ne_u32_e32 vcc_lo, 0x7f800000, v7
                                        ; implicit-def: $vgpr7
	s_and_saveexec_b32 s1, vcc_lo
	s_xor_b32 s1, exec_lo, s1
; %bb.228:                              ;   in Loop: Header=BB9_223 Depth=1
	v_bfe_u32 v7, v6, 16, 1
	s_delay_alu instid0(VALU_DEP_1)
	v_add3_u32 v7, v6, v7, 0x7fff
                                        ; implicit-def: $vgpr6
; %bb.229:                              ;   in Loop: Header=BB9_223 Depth=1
	s_and_not1_saveexec_b32 s1, s1
	s_cbranch_execz .LBB9_222
; %bb.230:                              ;   in Loop: Header=BB9_223 Depth=1
	v_and_b32_e32 v7, 0xffff, v6
	v_or_b32_e32 v8, 0x10000, v6
	s_delay_alu instid0(VALU_DEP_2) | instskip(NEXT) | instid1(VALU_DEP_2)
	v_cmp_eq_u32_e32 vcc_lo, 0, v7
	v_cndmask_b32_e32 v7, v8, v6, vcc_lo
	s_branch .LBB9_222
.LBB9_231:
	s_nop 0
	s_sendmsg sendmsg(MSG_DEALLOC_VGPRS)
	s_endpgm
	.section	.rodata,"a",@progbits
	.p2align	6, 0x0
	.amdhsa_kernel _ZN4vllm15gptq_rdna3_wmma28gemm_q4_wmma_kernel_64x16_4wI14__hip_bfloat16EEvPKT_PKjS7_S5_PS3_iiiiiPKi
		.amdhsa_group_segment_fixed_size 1024
		.amdhsa_private_segment_fixed_size 0
		.amdhsa_kernarg_size 328
		.amdhsa_user_sgpr_count 13
		.amdhsa_user_sgpr_dispatch_ptr 0
		.amdhsa_user_sgpr_queue_ptr 0
		.amdhsa_user_sgpr_kernarg_segment_ptr 1
		.amdhsa_user_sgpr_dispatch_id 0
		.amdhsa_user_sgpr_private_segment_size 0
		.amdhsa_wavefront_size32 1
		.amdhsa_uses_dynamic_stack 0
		.amdhsa_enable_private_segment 0
		.amdhsa_system_sgpr_workgroup_id_x 1
		.amdhsa_system_sgpr_workgroup_id_y 1
		.amdhsa_system_sgpr_workgroup_id_z 1
		.amdhsa_system_sgpr_workgroup_info 0
		.amdhsa_system_vgpr_workitem_id 0
		.amdhsa_next_free_vgpr 46
		.amdhsa_next_free_sgpr 50
		.amdhsa_reserve_vcc 1
		.amdhsa_float_round_mode_32 0
		.amdhsa_float_round_mode_16_64 0
		.amdhsa_float_denorm_mode_32 3
		.amdhsa_float_denorm_mode_16_64 3
		.amdhsa_dx10_clamp 1
		.amdhsa_ieee_mode 1
		.amdhsa_fp16_overflow 0
		.amdhsa_workgroup_processor_mode 1
		.amdhsa_memory_ordered 1
		.amdhsa_forward_progress 0
		.amdhsa_shared_vgpr_count 0
		.amdhsa_exception_fp_ieee_invalid_op 0
		.amdhsa_exception_fp_denorm_src 0
		.amdhsa_exception_fp_ieee_div_zero 0
		.amdhsa_exception_fp_ieee_overflow 0
		.amdhsa_exception_fp_ieee_underflow 0
		.amdhsa_exception_fp_ieee_inexact 0
		.amdhsa_exception_int_div_zero 0
	.end_amdhsa_kernel
	.section	.text._ZN4vllm15gptq_rdna3_wmma28gemm_q4_wmma_kernel_64x16_4wI14__hip_bfloat16EEvPKT_PKjS7_S5_PS3_iiiiiPKi,"axG",@progbits,_ZN4vllm15gptq_rdna3_wmma28gemm_q4_wmma_kernel_64x16_4wI14__hip_bfloat16EEvPKT_PKjS7_S5_PS3_iiiiiPKi,comdat
.Lfunc_end9:
	.size	_ZN4vllm15gptq_rdna3_wmma28gemm_q4_wmma_kernel_64x16_4wI14__hip_bfloat16EEvPKT_PKjS7_S5_PS3_iiiiiPKi, .Lfunc_end9-_ZN4vllm15gptq_rdna3_wmma28gemm_q4_wmma_kernel_64x16_4wI14__hip_bfloat16EEvPKT_PKjS7_S5_PS3_iiiiiPKi
                                        ; -- End function
	.section	.AMDGPU.csdata,"",@progbits
; Kernel info:
; codeLenInByte = 10140
; NumSgprs: 52
; NumVgprs: 46
; ScratchSize: 0
; MemoryBound: 1
; FloatMode: 240
; IeeeMode: 1
; LDSByteSize: 1024 bytes/workgroup (compile time only)
; SGPRBlocks: 6
; VGPRBlocks: 5
; NumSGPRsForWavesPerEU: 52
; NumVGPRsForWavesPerEU: 46
; Occupancy: 16
; WaveLimiterHint : 1
; COMPUTE_PGM_RSRC2:SCRATCH_EN: 0
; COMPUTE_PGM_RSRC2:USER_SGPR: 13
; COMPUTE_PGM_RSRC2:TRAP_HANDLER: 0
; COMPUTE_PGM_RSRC2:TGID_X_EN: 1
; COMPUTE_PGM_RSRC2:TGID_Y_EN: 1
; COMPUTE_PGM_RSRC2:TGID_Z_EN: 1
; COMPUTE_PGM_RSRC2:TIDIG_COMP_CNT: 0
	.section	.text._ZN4vllm15gptq_rdna3_wmma28gemm_q4_wmma_kernel_64x32_4wI14__hip_bfloat16EEvPKT_PKjS7_S5_PS3_iiiiiPKi,"axG",@progbits,_ZN4vllm15gptq_rdna3_wmma28gemm_q4_wmma_kernel_64x32_4wI14__hip_bfloat16EEvPKT_PKjS7_S5_PS3_iiiiiPKi,comdat
	.protected	_ZN4vllm15gptq_rdna3_wmma28gemm_q4_wmma_kernel_64x32_4wI14__hip_bfloat16EEvPKT_PKjS7_S5_PS3_iiiiiPKi ; -- Begin function _ZN4vllm15gptq_rdna3_wmma28gemm_q4_wmma_kernel_64x32_4wI14__hip_bfloat16EEvPKT_PKjS7_S5_PS3_iiiiiPKi
	.globl	_ZN4vllm15gptq_rdna3_wmma28gemm_q4_wmma_kernel_64x32_4wI14__hip_bfloat16EEvPKT_PKjS7_S5_PS3_iiiiiPKi
	.p2align	8
	.type	_ZN4vllm15gptq_rdna3_wmma28gemm_q4_wmma_kernel_64x32_4wI14__hip_bfloat16EEvPKT_PKjS7_S5_PS3_iiiiiPKi,@function
_ZN4vllm15gptq_rdna3_wmma28gemm_q4_wmma_kernel_64x32_4wI14__hip_bfloat16EEvPKT_PKjS7_S5_PS3_iiiiiPKi: ; @_ZN4vllm15gptq_rdna3_wmma28gemm_q4_wmma_kernel_64x32_4wI14__hip_bfloat16EEvPKT_PKjS7_S5_PS3_iiiiiPKi
; %bb.0:
	s_load_b128 s[20:23], s[0:1], 0x28
	s_lshl_b32 s6, s14, 6
	s_lshl_b32 s3, s13, 5
	s_waitcnt lgkmcnt(0)
	s_cmp_ge_i32 s6, s20
	s_cselect_b32 s2, -1, 0
	s_cmp_ge_i32 s3, s21
	s_cselect_b32 s4, -1, 0
	s_delay_alu instid0(SALU_CYCLE_1) | instskip(NEXT) | instid1(SALU_CYCLE_1)
	s_or_b32 s2, s2, s4
	s_and_b32 vcc_lo, exec_lo, s2
	s_cbranch_vccnz .LBB10_445
; %bb.1:
	s_abs_i32 s2, s23
	s_clause 0x1
	s_load_b32 s33, s[0:1], 0x50
	s_load_b32 s34, s[0:1], 0x38
	v_cvt_f32_u32_e32 v1, s2
	s_sub_i32 s5, 0, s2
	s_abs_i32 s7, s22
	s_clause 0x1
	s_load_b128 s[24:27], s[0:1], 0x8
	s_load_b64 s[30:31], s[0:1], 0x18
	v_and_b32_e32 v29, 15, v0
	v_rcp_iflag_f32_e32 v1, v1
	v_bfe_u32 v30, v0, 4, 1
	s_waitcnt_depctr 0xfff
	v_mul_f32_e32 v1, 0x4f7ffffe, v1
	s_waitcnt lgkmcnt(0)
	v_cvt_f32_u32_e32 v2, s33
	s_delay_alu instid0(VALU_DEP_2) | instskip(NEXT) | instid1(VALU_DEP_1)
	v_cvt_u32_f32_e32 v1, v1
	v_readfirstlane_b32 s4, v1
	s_delay_alu instid0(VALU_DEP_3) | instskip(NEXT) | instid1(VALU_DEP_1)
	v_rcp_iflag_f32_e32 v1, v2
	s_mul_i32 s5, s5, s4
	s_delay_alu instid0(SALU_CYCLE_1) | instskip(NEXT) | instid1(SALU_CYCLE_1)
	s_mul_hi_u32 s5, s4, s5
	s_add_i32 s4, s4, s5
	s_xor_b32 s5, s22, s23
	s_mul_hi_u32 s4, s7, s4
	s_waitcnt_depctr 0xfff
	v_mul_f32_e32 v1, 0x4f7ffffe, v1
	s_mul_i32 s8, s4, s2
	s_ashr_i32 s5, s5, 31
	s_sub_i32 s7, s7, s8
	s_add_i32 s8, s4, 1
	s_sub_i32 s9, s7, s2
	s_cmp_ge_u32 s7, s2
	v_cvt_u32_f32_e32 v1, v1
	s_cselect_b32 s4, s8, s4
	s_cselect_b32 s7, s9, s7
	s_add_i32 s8, s4, 1
	s_cmp_ge_u32 s7, s2
	v_readfirstlane_b32 s2, v1
	s_cselect_b32 s4, s8, s4
	s_sub_i32 s7, 0, s33
	v_lshrrev_b32_e32 v1, 5, v0
	s_delay_alu instid0(VALU_DEP_2) | instskip(NEXT) | instid1(SALU_CYCLE_1)
	s_mul_i32 s7, s7, s2
	s_mul_hi_u32 s7, s2, s7
	s_delay_alu instid0(VALU_DEP_1) | instskip(SKIP_1) | instid1(SALU_CYCLE_1)
	v_lshlrev_b32_e32 v17, 4, v1
	s_add_i32 s2, s2, s7
	s_mul_hi_u32 s7, s22, s2
	s_xor_b32 s2, s4, s5
	s_mul_i32 s4, s7, s33
	s_sub_i32 s5, s2, s5
	s_sub_i32 s4, s22, s4
	s_add_i32 s8, s7, 1
	s_sub_i32 s9, s4, s33
	s_cmp_ge_u32 s4, s33
	v_cmp_lt_u32_e64 s2, 63, v0
	s_cselect_b32 s7, s8, s7
	s_cselect_b32 s4, s9, s4
	s_add_i32 s8, s7, 1
	s_cmp_ge_u32 s4, s33
	s_cselect_b32 s10, s8, s7
	s_mov_b32 s7, exec_lo
	s_mul_i32 s4, s10, s15
	v_cmpx_gt_u32_e32 64, v0
	s_xor_b32 s7, exec_lo, s7
	s_cbranch_execz .LBB10_5
; %bb.2:
	v_lshlrev_b32_e32 v17, 4, v1
	s_mov_b32 s8, exec_lo
	s_delay_alu instid0(VALU_DEP_1) | instskip(NEXT) | instid1(VALU_DEP_1)
	v_or_b32_e32 v2, v17, v29
	v_or_b32_e32 v1, s3, v2
	s_delay_alu instid0(VALU_DEP_1)
	v_cmpx_gt_i32_e64 s21, v1
	s_cbranch_execz .LBB10_4
; %bb.3:
	s_abs_i32 s9, s5
	s_ashr_i32 s11, s4, 31
	v_cvt_f32_u32_e32 v3, s9
	s_lshr_b32 s11, s11, 29
	s_sub_i32 s15, 0, s9
	s_add_i32 s11, s4, s11
	s_abs_i32 s14, s4
	v_rcp_iflag_f32_e32 v3, v3
	s_ashr_i32 s11, s11, 3
	s_xor_b32 s13, s4, s5
	v_add_nc_u32_e32 v8, s11, v30
	s_ashr_i32 s13, s13, 31
	s_delay_alu instid0(VALU_DEP_1) | instskip(SKIP_2) | instid1(VALU_DEP_1)
	v_mad_u64_u32 v[6:7], null, v8, s21, v[1:2]
	s_waitcnt_depctr 0xfff
	v_mul_f32_e32 v3, 0x4f7ffffe, v3
	v_cvt_u32_f32_e32 v3, v3
	v_ashrrev_i32_e32 v7, 31, v6
	s_delay_alu instid0(VALU_DEP_2) | instskip(SKIP_1) | instid1(VALU_DEP_2)
	v_readfirstlane_b32 s12, v3
	v_ashrrev_i32_e32 v3, 31, v1
	s_mul_i32 s15, s15, s12
	s_delay_alu instid0(VALU_DEP_1) | instskip(SKIP_1) | instid1(SALU_CYCLE_1)
	v_lshrrev_b32_e32 v3, 29, v3
	s_mul_hi_u32 s15, s12, s15
	s_add_i32 s12, s12, s15
	s_delay_alu instid0(VALU_DEP_1) | instskip(SKIP_1) | instid1(SALU_CYCLE_1)
	v_add_nc_u32_e32 v3, v1, v3
	s_mul_hi_u32 s12, s14, s12
	s_mul_i32 s15, s12, s9
	s_delay_alu instid0(SALU_CYCLE_1)
	s_sub_i32 s14, s14, s15
	s_add_i32 s15, s12, 1
	s_sub_i32 s16, s14, s9
	s_cmp_ge_u32 s14, s9
	v_ashrrev_i32_e32 v3, 3, v3
	s_cselect_b32 s12, s15, s12
	s_cselect_b32 s14, s16, s14
	s_add_i32 s15, s12, 1
	s_cmp_ge_u32 s14, s9
	s_cselect_b32 s9, s15, s12
	s_ashr_i32 s11, s21, 31
	s_xor_b32 s9, s9, s13
	s_lshr_b32 s11, s11, 29
	s_sub_i32 s9, s9, s13
	s_add_i32 s11, s21, s11
	v_mad_u64_u32 v[8:9], null, s9, s21, v[1:2]
	s_ashr_i32 s11, s11, 3
	v_lshlrev_b32_e32 v2, 1, v2
	v_mad_u64_u32 v[4:5], null, s9, s11, v[3:4]
	s_mov_b32 s9, 0xf000f
	s_delay_alu instid0(VALU_DEP_3) | instskip(NEXT) | instid1(VALU_DEP_3)
	v_ashrrev_i32_e32 v9, 31, v8
	v_lshl_add_u32 v2, v30, 9, v2
	s_delay_alu instid0(VALU_DEP_3) | instskip(NEXT) | instid1(VALU_DEP_1)
	v_ashrrev_i32_e32 v5, 31, v4
	v_lshlrev_b64 v[3:4], 2, v[4:5]
	v_lshlrev_b64 v[5:6], 2, v[6:7]
	s_delay_alu instid0(VALU_DEP_2) | instskip(NEXT) | instid1(VALU_DEP_3)
	v_add_co_u32 v3, vcc_lo, s26, v3
	v_add_co_ci_u32_e32 v4, vcc_lo, s27, v4, vcc_lo
	s_delay_alu instid0(VALU_DEP_3) | instskip(NEXT) | instid1(VALU_DEP_4)
	v_add_co_u32 v5, vcc_lo, s24, v5
	v_add_co_ci_u32_e32 v6, vcc_lo, s25, v6, vcc_lo
	global_load_b32 v1, v[3:4], off
	v_lshlrev_b64 v[3:4], 1, v[8:9]
	global_load_b32 v5, v[5:6], off
	v_add_co_u32 v3, vcc_lo, s30, v3
	v_add_co_ci_u32_e32 v4, vcc_lo, s31, v4, vcc_lo
	global_load_u16 v3, v[3:4], off
	v_lshlrev_b32_e32 v4, 2, v0
	s_waitcnt vmcnt(1)
	v_lshrrev_b32_e32 v7, 12, v5
	v_lshrrev_b32_e32 v6, 8, v5
	s_delay_alu instid0(VALU_DEP_2) | instskip(NEXT) | instid1(VALU_DEP_2)
	v_and_or_b32 v7, v7, s9, 0x43004300
	v_and_or_b32 v6, v6, s9, 0x43004300
	s_delay_alu instid0(VALU_DEP_2)
	v_lshlrev_b32_e32 v11, 16, v7
	s_waitcnt vmcnt(0)
	v_lshlrev_b32_e32 v3, 16, v3
	v_and_b32_e32 v7, 0x430f0000, v7
	v_and_b32_e32 v4, 28, v4
	v_lshlrev_b32_e32 v10, 16, v6
	v_and_b32_e32 v6, 0x430f0000, v6
	s_delay_alu instid0(VALU_DEP_3) | instskip(SKIP_2) | instid1(VALU_DEP_3)
	v_bfe_u32 v1, v1, v4, 4
	v_lshrrev_b32_e32 v4, 4, v5
	v_and_or_b32 v5, v5, s9, 0x43004300
	v_add_nc_u32_e32 v1, s34, v1
	s_delay_alu instid0(VALU_DEP_3) | instskip(NEXT) | instid1(VALU_DEP_3)
	v_and_or_b32 v4, v4, s9, 0x43004300
	v_lshlrev_b32_e32 v8, 16, v5
	v_and_b32_e32 v5, 0x430f0000, v5
	s_delay_alu instid0(VALU_DEP_4) | instskip(NEXT) | instid1(VALU_DEP_4)
	v_cvt_f32_u32_e32 v1, v1
	v_lshlrev_b32_e32 v9, 16, v4
	v_and_b32_e32 v4, 0x430f0000, v4
	s_delay_alu instid0(VALU_DEP_3) | instskip(NEXT) | instid1(VALU_DEP_1)
	v_add_f32_e32 v1, 0x43000000, v1
	v_mul_f32_e64 v1, v3, -v1
	s_delay_alu instid0(VALU_DEP_1)
	v_fma_f32 v8, v8, v3, v1
	v_fma_f32 v5, v5, v3, v1
	v_fma_f32 v9, v9, v3, v1
	v_fma_f32 v4, v4, v3, v1
	v_fma_f32 v10, v10, v3, v1
	v_fma_f32 v6, v6, v3, v1
	v_fma_f32 v11, v11, v3, v1
	v_fmac_f32_e32 v1, v7, v3
	v_bfe_u32 v3, v8, 16, 1
	v_bfe_u32 v7, v5, 16, 1
	;; [unrolled: 1-line block ×8, first 2 shown]
	v_add3_u32 v3, v8, v3, 0x7fff
	v_add3_u32 v5, v5, v7, 0x7fff
	v_add3_u32 v7, v9, v12, 0x7fff
	v_add3_u32 v4, v4, v13, 0x7fff
	v_add3_u32 v8, v10, v14, 0x7fff
	v_add3_u32 v6, v6, v15, 0x7fff
	v_add3_u32 v9, v11, v16, 0x7fff
	v_add3_u32 v1, v1, v18, 0x7fff
	ds_store_b16_d16_hi v2, v3
	ds_store_b16_d16_hi v2, v5 offset:64
	ds_store_b16_d16_hi v2, v7 offset:128
	;; [unrolled: 1-line block ×7, first 2 shown]
.LBB10_4:
	s_or_b32 exec_lo, exec_lo, s8
.LBB10_5:
	s_and_not1_saveexec_b32 s7, s7
	s_delay_alu instid0(SALU_CYCLE_1)
	s_or_b32 exec_lo, exec_lo, s7
	v_add_nc_u32_e32 v31, s6, v17
	s_cmp_gt_i32 s10, 0
	s_mov_b32 s7, 0
	s_waitcnt lgkmcnt(0)
	s_barrier
	buffer_gl0_inv
	s_cbranch_scc1 .LBB10_7
; %bb.6:
	v_add_nc_u32_e32 v23, s6, v17
	s_mov_b32 s6, 0
	s_branch .LBB10_8
.LBB10_7:
	s_mov_b32 s7, -1
                                        ; implicit-def: $sgpr6
                                        ; implicit-def: $vgpr23
.LBB10_8:
	s_load_b64 s[28:29], s[0:1], 0x20
	v_dual_mov_b32 v16, s6 :: v_dual_mov_b32 v15, s6
	v_dual_mov_b32 v14, s6 :: v_dual_mov_b32 v13, s6
	;; [unrolled: 1-line block ×8, first 2 shown]
	s_and_not1_b32 vcc_lo, exec_lo, s7
	s_cbranch_vccnz .LBB10_20
; %bb.9:
	s_clause 0x1
	s_load_b64 s[8:9], s[0:1], 0x40
	s_load_b64 s[6:7], s[0:1], 0x0
	s_ashr_i32 s0, s21, 31
	s_add_i32 s23, s4, s10
	s_lshr_b32 s0, s0, 29
	v_dual_mov_b32 v9, 0 :: v_dual_add_nc_u32 v4, v31, v29
	s_add_i32 s1, s21, s0
	v_lshlrev_b32_e32 v1, 2, v0
	s_ashr_i32 s35, s1, 3
	v_or_b32_e32 v2, v31, v29
	v_mov_b32_e32 v10, v9
	v_or_b32_e32 v32, v17, v29
	v_dual_mov_b32 v14, v9 :: v_dual_and_b32 v33, 28, v1
	s_delay_alu instid0(VALU_DEP_4)
	v_cmp_gt_i32_e64 s0, s20, v2
	v_mul_lo_u32 v2, v2, s22
	v_dual_mov_b32 v12, v9 :: v_dual_lshlrev_b32 v3, 3, v30
	v_mul_lo_u32 v4, s22, v4
	s_waitcnt lgkmcnt(0)
	s_cmp_lg_u64 s[8:9], 0
	v_or_b32_e32 v25, s3, v32
	s_cselect_b32 s36, -1, 0
	s_abs_i32 s37, s5
	v_dual_mov_b32 v11, v9 :: v_dual_lshlrev_b32 v34, 6, v3
	v_cvt_f32_u32_e32 v1, s37
	v_ashrrev_i32_e32 v3, 31, v2
	s_sub_i32 s10, 0, s37
	v_ashrrev_i32_e32 v7, 31, v25
	v_ashrrev_i32_e32 v5, 31, v4
	v_rcp_iflag_f32_e32 v6, v1
	v_mov_b32_e32 v13, v9
	s_ashr_i32 s22, s5, 31
	s_ashr_i32 s5, s4, 31
	v_lshlrev_b64 v[2:3], 1, v[2:3]
	v_lshrrev_b32_e32 v7, 29, v7
	v_lshlrev_b64 v[4:5], 1, v[4:5]
	v_mov_b32_e32 v15, v9
	v_mov_b32_e32 v16, v9
	s_delay_alu instid0(TRANS32_DEP_1) | instskip(SKIP_3) | instid1(VALU_DEP_4)
	v_dual_mov_b32 v1, v9 :: v_dual_mul_f32 v6, 0x4f7ffffe, v6
	v_add_nc_u32_e32 v7, v25, v7
	v_add_co_u32 v35, vcc_lo, s6, v2
	v_add_co_ci_u32_e32 v36, vcc_lo, s7, v3, vcc_lo
	v_cvt_u32_f32_e32 v6, v6
	v_cmp_le_i32_e64 s1, s21, v25
	v_ashrrev_i32_e32 v26, 3, v7
	v_mov_b32_e32 v2, v9
	v_mov_b32_e32 v3, v9
	v_readfirstlane_b32 s12, v6
	v_mov_b32_e32 v6, v9
	v_mov_b32_e32 v7, v9
	v_mov_b32_e32 v8, v9
	s_mov_b32 s43, 0
	s_mul_i32 s13, s10, s12
	s_lshl_b64 s[10:11], s[4:5], 2
	s_mul_hi_u32 s13, s12, s13
	s_mov_b32 s42, 0xf000f
	s_add_i32 s38, s12, s13
	s_add_u32 s8, s10, s8
	s_addc_u32 s9, s11, s9
	s_add_u32 s39, s8, 60
	s_addc_u32 s40, s9, 0
	s_lshl_b64 s[8:9], s[4:5], 1
	s_add_i32 s41, s4, 16
	s_add_u32 s4, s6, s8
	s_addc_u32 s5, s7, s9
	v_add_co_u32 v27, vcc_lo, s4, v4
	v_add_co_ci_u32_e32 v28, vcc_lo, s5, v5, vcc_lo
	v_mov_b32_e32 v4, v9
	v_mov_b32_e32 v5, v9
.LBB10_10:                              ; =>This Inner Loop Header: Depth=1
	s_cmp_ge_i32 s41, s23
	s_cselect_b32 s4, -1, 0
	s_delay_alu instid0(SALU_CYCLE_1) | instskip(NEXT) | instid1(SALU_CYCLE_1)
	s_or_b32 s4, s2, s4
	s_or_b32 s4, s4, s1
	s_delay_alu instid0(SALU_CYCLE_1) | instskip(NEXT) | instid1(SALU_CYCLE_1)
	s_xor_b32 s5, s4, -1
	s_and_saveexec_b32 s4, s5
	s_cbranch_execz .LBB10_12
; %bb.11:                               ;   in Loop: Header=BB10_10 Depth=1
	s_abs_i32 s6, s41
	s_ashr_i32 s5, s41, 31
	s_mul_hi_u32 s8, s6, s38
	s_lshr_b32 s7, s5, 29
	s_mul_i32 s9, s8, s37
	s_add_i32 s7, s41, s7
	s_sub_i32 s6, s6, s9
	s_ashr_i32 s7, s7, 3
	s_xor_b32 s5, s5, s22
	s_add_i32 s9, s8, 1
	s_sub_i32 s10, s6, s37
	s_cmp_ge_u32 s6, s37
	v_add_nc_u32_e32 v21, s7, v30
	s_cselect_b32 s8, s9, s8
	s_cselect_b32 s6, s10, s6
	s_add_i32 s9, s8, 1
	s_cmp_ge_u32 s6, s37
	v_mad_u64_u32 v[19:20], null, v21, s21, v[25:26]
	s_cselect_b32 s6, s9, s8
	s_delay_alu instid0(SALU_CYCLE_1) | instskip(NEXT) | instid1(SALU_CYCLE_1)
	s_xor_b32 s6, s6, s5
	s_sub_i32 s5, s6, s5
	s_delay_alu instid0(SALU_CYCLE_1) | instskip(SKIP_1) | instid1(VALU_DEP_3)
	v_mad_u64_u32 v[17:18], null, s5, s35, v[26:27]
	v_mad_u64_u32 v[21:22], null, s5, s21, v[25:26]
	v_ashrrev_i32_e32 v20, 31, v19
	s_lshl_b32 s5, s43, 10
	s_delay_alu instid0(VALU_DEP_3) | instskip(NEXT) | instid1(VALU_DEP_2)
	v_ashrrev_i32_e32 v18, 31, v17
	v_lshlrev_b64 v[19:20], 2, v[19:20]
	s_delay_alu instid0(VALU_DEP_4) | instskip(NEXT) | instid1(VALU_DEP_3)
	v_ashrrev_i32_e32 v22, 31, v21
	v_lshlrev_b64 v[17:18], 2, v[17:18]
	s_delay_alu instid0(VALU_DEP_1) | instskip(NEXT) | instid1(VALU_DEP_2)
	v_add_co_u32 v17, vcc_lo, s26, v17
	v_add_co_ci_u32_e32 v18, vcc_lo, s27, v18, vcc_lo
	v_add_co_u32 v19, vcc_lo, s24, v19
	v_add_co_ci_u32_e32 v20, vcc_lo, s25, v20, vcc_lo
	global_load_b32 v23, v[17:18], off
	v_lshlrev_b64 v[17:18], 1, v[21:22]
	global_load_b32 v19, v[19:20], off
	v_add_co_u32 v17, vcc_lo, s30, v17
	v_add_co_ci_u32_e32 v18, vcc_lo, s31, v18, vcc_lo
	global_load_u16 v17, v[17:18], off
	v_subrev_nc_u32_e32 v18, s5, v34
	s_delay_alu instid0(VALU_DEP_1)
	v_lshl_add_u32 v18, v32, 1, v18
	s_waitcnt vmcnt(2)
	v_bfe_u32 v20, v23, v33, 4
	s_waitcnt vmcnt(1)
	v_lshrrev_b32_e32 v23, 12, v19
	v_lshrrev_b32_e32 v21, 4, v19
	s_delay_alu instid0(VALU_DEP_3)
	v_add_nc_u32_e32 v20, s34, v20
	v_lshrrev_b32_e32 v22, 8, v19
	v_and_or_b32 v19, v19, s42, 0x43004300
	v_and_or_b32 v23, v23, s42, 0x43004300
	;; [unrolled: 1-line block ×3, first 2 shown]
	v_cvt_f32_u32_e32 v20, v20
	v_and_or_b32 v22, v22, s42, 0x43004300
	v_lshlrev_b32_e32 v24, 16, v19
	v_lshlrev_b32_e32 v39, 16, v23
	s_waitcnt vmcnt(0)
	v_dual_add_f32 v20, 0x43000000, v20 :: v_dual_lshlrev_b32 v17, 16, v17
	v_and_b32_e32 v23, 0x430f0000, v23
	v_lshlrev_b32_e32 v37, 16, v21
	v_and_b32_e32 v21, 0x430f0000, v21
	v_lshlrev_b32_e32 v38, 16, v22
	v_mul_f32_e64 v20, v17, -v20
	v_and_b32_e32 v19, 0x430f0000, v19
	v_and_b32_e32 v22, 0x430f0000, v22
	s_delay_alu instid0(VALU_DEP_3) | instskip(NEXT) | instid1(VALU_DEP_3)
	v_fma_f32 v24, v24, v17, v20
	v_fma_f32 v19, v19, v17, v20
	;; [unrolled: 1-line block ×7, first 2 shown]
	v_fmac_f32_e32 v20, v23, v17
	v_bfe_u32 v17, v24, 16, 1
	v_bfe_u32 v23, v19, 16, 1
	;; [unrolled: 1-line block ×8, first 2 shown]
	v_add3_u32 v17, v24, v17, 0x7fff
	v_add3_u32 v19, v19, v23, 0x7fff
	;; [unrolled: 1-line block ×8, first 2 shown]
	ds_store_b16_d16_hi v18, v17 offset:1024
	ds_store_b16_d16_hi v18, v19 offset:1088
	;; [unrolled: 1-line block ×8, first 2 shown]
.LBB10_12:                              ;   in Loop: Header=BB10_10 Depth=1
	s_or_b32 exec_lo, exec_lo, s4
	v_dual_mov_b32 v17, 0 :: v_dual_mov_b32 v18, 0
	v_dual_mov_b32 v19, 0 :: v_dual_mov_b32 v20, 0
	;; [unrolled: 1-line block ×4, first 2 shown]
	s_and_saveexec_b32 s44, s0
	s_cbranch_execz .LBB10_16
; %bb.13:                               ;   in Loop: Header=BB10_10 Depth=1
	s_and_not1_b32 vcc_lo, exec_lo, s36
	s_cbranch_vccnz .LBB10_18
; %bb.14:                               ;   in Loop: Header=BB10_10 Depth=1
	s_add_u32 s4, s39, 0xffffffc4
	s_addc_u32 s5, s40, -1
	s_load_b512 s[4:19], s[4:5], 0x0
	s_waitcnt lgkmcnt(0)
	s_ashr_i32 s47, s4, 31
	s_mov_b32 s46, s4
	s_ashr_i32 s49, s5, 31
	s_lshl_b64 s[46:47], s[46:47], 1
	s_mov_b32 s48, s5
	v_add_co_u32 v17, vcc_lo, v35, s46
	s_lshl_b64 s[48:49], s[48:49], 1
	s_ashr_i32 s5, s6, 31
	s_mov_b32 s4, s6
	v_add_co_ci_u32_e32 v18, vcc_lo, s47, v36, vcc_lo
	v_add_co_u32 v19, vcc_lo, v35, s48
	s_lshl_b64 s[4:5], s[4:5], 1
	s_ashr_i32 s51, s7, 31
	s_mov_b32 s50, s7
	v_add_co_ci_u32_e32 v20, vcc_lo, s49, v36, vcc_lo
	v_add_co_u32 v21, vcc_lo, v35, s4
	s_lshl_b64 s[50:51], s[50:51], 1
	s_ashr_i32 s7, s8, 31
	v_add_co_ci_u32_e32 v22, vcc_lo, s5, v36, vcc_lo
	s_mov_b32 s6, s8
	v_add_co_u32 v23, vcc_lo, v35, s50
	s_lshl_b64 s[4:5], s[6:7], 1
	v_add_co_ci_u32_e32 v24, vcc_lo, s51, v36, vcc_lo
	s_ashr_i32 s7, s9, 31
	s_mov_b32 s6, s9
	v_add_co_u32 v37, vcc_lo, v35, s4
	v_add_co_ci_u32_e32 v38, vcc_lo, s5, v36, vcc_lo
	s_lshl_b64 s[4:5], s[6:7], 1
	s_ashr_i32 s7, s10, 31
	s_mov_b32 s6, s10
	v_add_co_u32 v39, vcc_lo, v35, s4
	v_add_co_ci_u32_e32 v40, vcc_lo, s5, v36, vcc_lo
	s_lshl_b64 s[4:5], s[6:7], 1
	;; [unrolled: 5-line block ×3, first 2 shown]
	s_ashr_i32 s7, s13, 31
	v_add_co_u32 v43, vcc_lo, v35, s4
	v_add_co_ci_u32_e32 v44, vcc_lo, s5, v36, vcc_lo
	s_ashr_i32 s5, s12, 31
	s_mov_b32 s4, s12
	s_clause 0x7
	global_load_u16 v45, v[17:18], off
	global_load_u16 v46, v[19:20], off
	;; [unrolled: 1-line block ×8, first 2 shown]
	s_lshl_b64 s[4:5], s[4:5], 1
	s_mov_b32 s6, s13
	v_add_co_u32 v17, vcc_lo, v35, s4
	v_add_co_ci_u32_e32 v18, vcc_lo, s5, v36, vcc_lo
	s_lshl_b64 s[4:5], s[6:7], 1
	s_ashr_i32 s7, s14, 31
	s_mov_b32 s6, s14
	v_add_co_u32 v19, vcc_lo, v35, s4
	v_add_co_ci_u32_e32 v20, vcc_lo, s5, v36, vcc_lo
	s_lshl_b64 s[4:5], s[6:7], 1
	s_ashr_i32 s7, s15, 31
	;; [unrolled: 5-line block ×6, first 2 shown]
	s_mov_b32 s6, s19
	v_add_co_u32 v41, vcc_lo, v35, s4
	v_add_co_ci_u32_e32 v42, vcc_lo, s5, v36, vcc_lo
	s_lshl_b64 s[4:5], s[6:7], 1
	s_delay_alu instid0(SALU_CYCLE_1)
	v_add_co_u32 v43, vcc_lo, v35, s4
	v_add_co_ci_u32_e32 v44, vcc_lo, s5, v36, vcc_lo
	s_clause 0x7
	global_load_u16 v53, v[17:18], off
	global_load_u16 v54, v[19:20], off
	;; [unrolled: 1-line block ×8, first 2 shown]
	s_waitcnt vmcnt(14)
	v_perm_b32 v17, v46, v45, 0x5040100
	s_waitcnt vmcnt(12)
	v_perm_b32 v18, v48, v47, 0x5040100
	;; [unrolled: 2-line block ×8, first 2 shown]
	s_cbranch_execnz .LBB10_16
.LBB10_15:                              ;   in Loop: Header=BB10_10 Depth=1
	s_clause 0x1
	global_load_b128 v[17:20], v[27:28], off
	global_load_b128 v[21:24], v[27:28], off offset:16
.LBB10_16:                              ;   in Loop: Header=BB10_10 Depth=1
	s_or_b32 exec_lo, exec_lo, s44
	v_lshlrev_b32_e32 v37, 1, v29
	v_add_co_u32 v27, vcc_lo, v27, 32
	v_add_co_ci_u32_e32 v28, vcc_lo, 0, v28, vcc_lo
	s_delay_alu instid0(VALU_DEP_3)
	v_lshl_or_b32 v37, s43, 10, v37
	s_sub_i32 s43, 1, s43
	s_add_u32 s39, s39, 64
	s_addc_u32 s40, s40, 0
	s_add_i32 s4, s41, 16
	ds_load_u16 v38, v37 offset:128
	ds_load_u16 v45, v37 offset:160
	;; [unrolled: 1-line block ×21, first 2 shown]
	ds_load_u16 v59, v37
	ds_load_u16 v60, v37 offset:32
	ds_load_u16 v61, v37 offset:64
	;; [unrolled: 1-line block ×10, first 2 shown]
	s_waitcnt lgkmcnt(20)
	v_perm_b32 v42, v51, v42, 0x5040100
	v_perm_b32 v41, v41, v40, 0x5040100
	s_waitcnt lgkmcnt(17)
	v_perm_b32 v44, v44, v43, 0x5040100
	v_perm_b32 v39, v48, v39, 0x5040100
	v_perm_b32 v38, v46, v38, 0x5040100
	s_waitcnt lgkmcnt(14)
	v_perm_b32 v43, v55, v53, 0x5040100
	s_cmp_ge_i32 s41, s23
	s_waitcnt vmcnt(0) lgkmcnt(0)
	v_perm_b32 v40, v58, v56, 0x5040100
	s_barrier
	buffer_gl0_inv
	v_perm_b32 v37, v61, v59, 0x5040100
	v_perm_b32 v52, v62, v52, 0x5040100
	v_perm_b32 v51, v63, v54, 0x5040100
	v_perm_b32 v50, v64, v50, 0x5040100
	v_perm_b32 v49, v65, v49, 0x5040100
	v_perm_b32 v48, v66, v57, 0x5040100
	v_perm_b32 v47, v67, v47, 0x5040100
	v_perm_b32 v46, v68, v45, 0x5040100
	v_perm_b32 v45, v69, v60, 0x5040100
	v_wmma_f32_16x16x16_bf16 v[9:16], v[17:24], v[37:44], v[9:16]
	s_delay_alu instid0(VALU_DEP_2)
	v_wmma_f32_16x16x16_bf16 v[1:8], v[17:24], v[45:52], v[1:8]
	s_cbranch_scc1 .LBB10_19
; %bb.17:                               ;   in Loop: Header=BB10_10 Depth=1
	s_mov_b32 s41, s4
	s_branch .LBB10_10
.LBB10_18:                              ;   in Loop: Header=BB10_10 Depth=1
                                        ; implicit-def: $vgpr24
	s_branch .LBB10_15
.LBB10_19:
	v_mov_b32_e32 v23, v31
.LBB10_20:
	s_cmp_lt_u32 s33, 2
	v_or_b32_e32 v17, s3, v29
	s_cselect_b32 s2, -1, 0
	s_mov_b32 s0, -1
	s_and_b32 vcc_lo, exec_lo, s2
	s_cbranch_vccz .LBB10_71
; %bb.21:
	s_mov_b32 s0, exec_lo
	v_cmpx_gt_i32_e64 s21, v17
	s_cbranch_execz .LBB10_70
; %bb.22:
	v_or_b32_e32 v19, v23, v30
	v_ashrrev_i32_e32 v18, 31, v17
	s_mov_b32 s1, exec_lo
	s_delay_alu instid0(VALU_DEP_2)
	v_cmpx_gt_i32_e64 s20, v19
	s_cbranch_execz .LBB10_28
; %bb.23:
	v_and_b32_e32 v20, 0x7f800000, v9
	s_delay_alu instid0(VALU_DEP_1) | instskip(SKIP_1) | instid1(SALU_CYCLE_1)
	v_cmp_ne_u32_e32 vcc_lo, 0x7f800000, v20
                                        ; implicit-def: $vgpr20
	s_and_saveexec_b32 s4, vcc_lo
	s_xor_b32 s4, exec_lo, s4
; %bb.24:
	v_bfe_u32 v20, v9, 16, 1
	s_delay_alu instid0(VALU_DEP_1)
	v_add3_u32 v20, v9, v20, 0x7fff
; %bb.25:
	s_and_not1_saveexec_b32 s4, s4
; %bb.26:
	v_and_b32_e32 v20, 0xffff, v9
	v_or_b32_e32 v21, 0x10000, v9
	s_delay_alu instid0(VALU_DEP_2) | instskip(NEXT) | instid1(VALU_DEP_2)
	v_cmp_eq_u32_e32 vcc_lo, 0, v20
	v_cndmask_b32_e32 v20, v21, v9, vcc_lo
; %bb.27:
	s_or_b32 exec_lo, exec_lo, s4
	v_mul_lo_u32 v21, v19, s21
	v_lshlrev_b64 v[24:25], 1, v[17:18]
	s_delay_alu instid0(VALU_DEP_2) | instskip(NEXT) | instid1(VALU_DEP_1)
	v_ashrrev_i32_e32 v22, 31, v21
	v_lshlrev_b64 v[21:22], 1, v[21:22]
	s_waitcnt lgkmcnt(0)
	s_delay_alu instid0(VALU_DEP_1) | instskip(NEXT) | instid1(VALU_DEP_2)
	v_add_co_u32 v21, vcc_lo, s28, v21
	v_add_co_ci_u32_e32 v22, vcc_lo, s29, v22, vcc_lo
	s_delay_alu instid0(VALU_DEP_2) | instskip(NEXT) | instid1(VALU_DEP_2)
	v_add_co_u32 v21, vcc_lo, v21, v24
	v_add_co_ci_u32_e32 v22, vcc_lo, v22, v25, vcc_lo
	global_store_d16_hi_b16 v[21:22], v20, off
.LBB10_28:
	s_or_b32 exec_lo, exec_lo, s1
	v_or_b32_e32 v20, 2, v19
	s_mov_b32 s1, exec_lo
	s_delay_alu instid0(VALU_DEP_1)
	v_cmpx_gt_i32_e64 s20, v20
	s_cbranch_execz .LBB10_34
; %bb.29:
	v_and_b32_e32 v21, 0x7f800000, v10
	s_delay_alu instid0(VALU_DEP_1) | instskip(SKIP_1) | instid1(SALU_CYCLE_1)
	v_cmp_ne_u32_e32 vcc_lo, 0x7f800000, v21
                                        ; implicit-def: $vgpr21
	s_and_saveexec_b32 s4, vcc_lo
	s_xor_b32 s4, exec_lo, s4
; %bb.30:
	v_bfe_u32 v21, v10, 16, 1
	s_delay_alu instid0(VALU_DEP_1)
	v_add3_u32 v21, v10, v21, 0x7fff
; %bb.31:
	s_and_not1_saveexec_b32 s4, s4
; %bb.32:
	v_and_b32_e32 v21, 0xffff, v10
	v_or_b32_e32 v22, 0x10000, v10
	s_delay_alu instid0(VALU_DEP_2) | instskip(NEXT) | instid1(VALU_DEP_2)
	v_cmp_eq_u32_e32 vcc_lo, 0, v21
	v_cndmask_b32_e32 v21, v22, v10, vcc_lo
; %bb.33:
	s_or_b32 exec_lo, exec_lo, s4
	v_mul_lo_u32 v24, v20, s21
	v_lshlrev_b64 v[26:27], 1, v[17:18]
	s_delay_alu instid0(VALU_DEP_2) | instskip(NEXT) | instid1(VALU_DEP_1)
	v_ashrrev_i32_e32 v25, 31, v24
	v_lshlrev_b64 v[24:25], 1, v[24:25]
	s_waitcnt lgkmcnt(0)
	s_delay_alu instid0(VALU_DEP_1) | instskip(NEXT) | instid1(VALU_DEP_2)
	v_add_co_u32 v20, vcc_lo, s28, v24
	v_add_co_ci_u32_e32 v22, vcc_lo, s29, v25, vcc_lo
	s_delay_alu instid0(VALU_DEP_2) | instskip(NEXT) | instid1(VALU_DEP_2)
	v_add_co_u32 v24, vcc_lo, v20, v26
	v_add_co_ci_u32_e32 v25, vcc_lo, v22, v27, vcc_lo
	global_store_d16_hi_b16 v[24:25], v21, off
.LBB10_34:
	s_or_b32 exec_lo, exec_lo, s1
	v_or_b32_e32 v20, 4, v19
	s_mov_b32 s1, exec_lo
	s_delay_alu instid0(VALU_DEP_1)
	v_cmpx_gt_i32_e64 s20, v20
	s_cbranch_execz .LBB10_40
; %bb.35:
	v_and_b32_e32 v21, 0x7f800000, v11
	s_delay_alu instid0(VALU_DEP_1) | instskip(SKIP_1) | instid1(SALU_CYCLE_1)
	v_cmp_ne_u32_e32 vcc_lo, 0x7f800000, v21
                                        ; implicit-def: $vgpr21
	s_and_saveexec_b32 s4, vcc_lo
	s_xor_b32 s4, exec_lo, s4
; %bb.36:
	v_bfe_u32 v21, v11, 16, 1
	s_delay_alu instid0(VALU_DEP_1)
	v_add3_u32 v21, v11, v21, 0x7fff
; %bb.37:
	s_and_not1_saveexec_b32 s4, s4
; %bb.38:
	v_and_b32_e32 v21, 0xffff, v11
	v_or_b32_e32 v22, 0x10000, v11
	s_delay_alu instid0(VALU_DEP_2) | instskip(NEXT) | instid1(VALU_DEP_2)
	v_cmp_eq_u32_e32 vcc_lo, 0, v21
	v_cndmask_b32_e32 v21, v22, v11, vcc_lo
; %bb.39:
	s_or_b32 exec_lo, exec_lo, s4
	v_mul_lo_u32 v24, v20, s21
	v_lshlrev_b64 v[26:27], 1, v[17:18]
	s_delay_alu instid0(VALU_DEP_2) | instskip(NEXT) | instid1(VALU_DEP_1)
	v_ashrrev_i32_e32 v25, 31, v24
	v_lshlrev_b64 v[24:25], 1, v[24:25]
	s_waitcnt lgkmcnt(0)
	s_delay_alu instid0(VALU_DEP_1) | instskip(NEXT) | instid1(VALU_DEP_2)
	v_add_co_u32 v20, vcc_lo, s28, v24
	v_add_co_ci_u32_e32 v22, vcc_lo, s29, v25, vcc_lo
	s_delay_alu instid0(VALU_DEP_2) | instskip(NEXT) | instid1(VALU_DEP_2)
	v_add_co_u32 v24, vcc_lo, v20, v26
	v_add_co_ci_u32_e32 v25, vcc_lo, v22, v27, vcc_lo
	global_store_d16_hi_b16 v[24:25], v21, off
.LBB10_40:
	;; [unrolled: 41-line block ×6, first 2 shown]
	s_or_b32 exec_lo, exec_lo, s1
	v_or_b32_e32 v19, 14, v19
	s_delay_alu instid0(VALU_DEP_1)
	v_cmp_gt_i32_e32 vcc_lo, s20, v19
	s_and_b32 exec_lo, exec_lo, vcc_lo
	s_cbranch_execz .LBB10_70
; %bb.65:
	v_and_b32_e32 v20, 0x7f800000, v16
	s_delay_alu instid0(VALU_DEP_1) | instskip(SKIP_1) | instid1(SALU_CYCLE_1)
	v_cmp_ne_u32_e32 vcc_lo, 0x7f800000, v20
                                        ; implicit-def: $vgpr20
	s_and_saveexec_b32 s1, vcc_lo
	s_xor_b32 s1, exec_lo, s1
; %bb.66:
	v_bfe_u32 v20, v16, 16, 1
	s_delay_alu instid0(VALU_DEP_1)
	v_add3_u32 v20, v16, v20, 0x7fff
; %bb.67:
	s_and_not1_saveexec_b32 s1, s1
; %bb.68:
	v_and_b32_e32 v20, 0xffff, v16
	v_or_b32_e32 v21, 0x10000, v16
	s_delay_alu instid0(VALU_DEP_2) | instskip(NEXT) | instid1(VALU_DEP_2)
	v_cmp_eq_u32_e32 vcc_lo, 0, v20
	v_cndmask_b32_e32 v20, v21, v16, vcc_lo
; %bb.69:
	s_or_b32 exec_lo, exec_lo, s1
	v_mul_lo_u32 v21, v19, s21
	v_lshlrev_b64 v[18:19], 1, v[17:18]
	s_delay_alu instid0(VALU_DEP_2) | instskip(NEXT) | instid1(VALU_DEP_1)
	v_ashrrev_i32_e32 v22, 31, v21
	v_lshlrev_b64 v[21:22], 1, v[21:22]
	s_waitcnt lgkmcnt(0)
	s_delay_alu instid0(VALU_DEP_1) | instskip(NEXT) | instid1(VALU_DEP_2)
	v_add_co_u32 v21, vcc_lo, s28, v21
	v_add_co_ci_u32_e32 v22, vcc_lo, s29, v22, vcc_lo
	s_delay_alu instid0(VALU_DEP_2) | instskip(NEXT) | instid1(VALU_DEP_2)
	v_add_co_u32 v18, vcc_lo, v21, v18
	v_add_co_ci_u32_e32 v19, vcc_lo, v22, v19, vcc_lo
	global_store_d16_hi_b16 v[18:19], v20, off
.LBB10_70:
	s_or_b32 exec_lo, exec_lo, s0
	s_mov_b32 s0, 0
.LBB10_71:
	v_and_b32_e32 v0, 1, v0
	v_mbcnt_lo_u32_b32 v24, -1, 0
	s_and_not1_b32 vcc_lo, exec_lo, s0
	s_cbranch_vccnz .LBB10_233
; %bb.72:
	s_delay_alu instid0(VALU_DEP_1) | instskip(NEXT) | instid1(VALU_DEP_1)
	v_xor_b32_e32 v18, 1, v24
	v_cmp_gt_i32_e32 vcc_lo, 32, v18
	v_cndmask_b32_e32 v18, v24, v18, vcc_lo
	v_cmp_eq_u32_e32 vcc_lo, 0, v0
	s_delay_alu instid0(VALU_DEP_2)
	v_lshlrev_b32_e32 v25, 2, v18
	v_ashrrev_i32_e32 v18, 31, v17
	ds_bpermute_b32 v19, v25, v9
	s_and_saveexec_b32 s4, vcc_lo
	s_cbranch_execz .LBB10_92
; %bb.73:
	v_or_b32_e32 v20, v23, v30
	v_cmp_gt_i32_e64 s1, s21, v17
	s_delay_alu instid0(VALU_DEP_2) | instskip(NEXT) | instid1(VALU_DEP_1)
	v_cmp_gt_i32_e64 s0, s20, v20
	s_and_b32 s0, s0, s1
	s_delay_alu instid0(SALU_CYCLE_1)
	s_and_b32 exec_lo, exec_lo, s0
	s_cbranch_execz .LBB10_92
; %bb.74:
	v_and_b32_e32 v21, 0x7f800000, v9
	s_delay_alu instid0(VALU_DEP_1) | instskip(NEXT) | instid1(VALU_DEP_1)
	v_cmp_ne_u32_e64 s0, 0x7f800000, v21
                                        ; implicit-def: $vgpr21
	s_and_saveexec_b32 s1, s0
	s_delay_alu instid0(SALU_CYCLE_1)
	s_xor_b32 s0, exec_lo, s1
; %bb.75:
	v_bfe_u32 v21, v9, 16, 1
	s_delay_alu instid0(VALU_DEP_1)
	v_add3_u32 v21, v9, v21, 0x7fff
; %bb.76:
	s_and_not1_saveexec_b32 s1, s0
; %bb.77:
	v_and_b32_e32 v21, 0xffff, v9
	v_or_b32_e32 v22, 0x10000, v9
	s_delay_alu instid0(VALU_DEP_2) | instskip(NEXT) | instid1(VALU_DEP_1)
	v_cmp_eq_u32_e64 s0, 0, v21
	v_cndmask_b32_e64 v21, v22, v9, s0
; %bb.78:
	s_or_b32 exec_lo, exec_lo, s1
	s_waitcnt lgkmcnt(0)
	v_and_b32_e32 v9, 0x7f800000, v19
                                        ; implicit-def: $vgpr26
	s_delay_alu instid0(VALU_DEP_1) | instskip(NEXT) | instid1(VALU_DEP_1)
	v_cmp_ne_u32_e64 s0, 0x7f800000, v9
	s_and_saveexec_b32 s1, s0
	s_delay_alu instid0(SALU_CYCLE_1)
	s_xor_b32 s0, exec_lo, s1
; %bb.79:
	v_bfe_u32 v9, v19, 16, 1
	s_delay_alu instid0(VALU_DEP_1)
	v_add3_u32 v26, v19, v9, 0x7fff
                                        ; implicit-def: $vgpr19
; %bb.80:
	s_and_not1_saveexec_b32 s1, s0
; %bb.81:
	v_and_b32_e32 v9, 0xffff, v19
	v_or_b32_e32 v22, 0x10000, v19
	s_delay_alu instid0(VALU_DEP_2) | instskip(NEXT) | instid1(VALU_DEP_1)
	v_cmp_eq_u32_e64 s0, 0, v9
	v_cndmask_b32_e64 v26, v22, v19, s0
; %bb.82:
	s_or_b32 exec_lo, exec_lo, s1
	v_mul_lo_u32 v19, v20, s21
	v_lshlrev_b64 v[27:28], 1, v[17:18]
	s_delay_alu instid0(VALU_DEP_3) | instskip(SKIP_1) | instid1(VALU_DEP_3)
	v_and_b32_e32 v26, 0xffff0000, v26
	s_mov_b32 s1, 0
	v_ashrrev_i32_e32 v20, 31, v19
	s_delay_alu instid0(VALU_DEP_1) | instskip(NEXT) | instid1(VALU_DEP_1)
	v_lshlrev_b64 v[19:20], 1, v[19:20]
	v_add_co_u32 v9, s0, s28, v19
	s_delay_alu instid0(VALU_DEP_1) | instskip(NEXT) | instid1(VALU_DEP_2)
	v_add_co_ci_u32_e64 v20, s0, s29, v20, s0
	v_add_co_u32 v19, s0, v9, v27
	s_delay_alu instid0(VALU_DEP_1)
	v_add_co_ci_u32_e64 v20, s0, v20, v28, s0
	v_and_b32_e32 v9, 0xffff0000, v21
	global_load_b32 v22, v[19:20], off
	s_branch .LBB10_84
.LBB10_83:                              ;   in Loop: Header=BB10_84 Depth=1
	s_or_b32 exec_lo, exec_lo, s5
	v_lshrrev_b32_e32 v21, 16, v21
	s_delay_alu instid0(VALU_DEP_1) | instskip(SKIP_4) | instid1(VALU_DEP_2)
	v_and_or_b32 v21, 0xffff0000, v28, v21
	global_atomic_cmpswap_b32 v21, v[19:20], v[21:22], off glc
	s_waitcnt vmcnt(0)
	v_cmp_eq_u32_e64 s0, v21, v22
	v_mov_b32_e32 v22, v21
	s_or_b32 s1, s0, s1
	s_delay_alu instid0(SALU_CYCLE_1)
	s_and_not1_b32 exec_lo, exec_lo, s1
	s_cbranch_execz .LBB10_92
.LBB10_84:                              ; =>This Inner Loop Header: Depth=1
	s_waitcnt vmcnt(0)
	v_lshlrev_b32_e32 v21, 16, v22
	s_delay_alu instid0(VALU_DEP_1) | instskip(NEXT) | instid1(VALU_DEP_1)
	v_add_f32_e32 v27, v9, v21
	v_and_b32_e32 v21, 0x7f800000, v27
	s_delay_alu instid0(VALU_DEP_1) | instskip(NEXT) | instid1(VALU_DEP_1)
	v_cmp_ne_u32_e64 s0, 0x7f800000, v21
                                        ; implicit-def: $vgpr21
	s_and_saveexec_b32 s5, s0
	s_delay_alu instid0(SALU_CYCLE_1)
	s_xor_b32 s0, exec_lo, s5
; %bb.85:                               ;   in Loop: Header=BB10_84 Depth=1
	v_bfe_u32 v21, v27, 16, 1
	s_delay_alu instid0(VALU_DEP_1)
	v_add3_u32 v21, v27, v21, 0x7fff
                                        ; implicit-def: $vgpr27
; %bb.86:                               ;   in Loop: Header=BB10_84 Depth=1
	s_and_not1_saveexec_b32 s5, s0
; %bb.87:                               ;   in Loop: Header=BB10_84 Depth=1
	v_and_b32_e32 v21, 0xffff, v27
	v_or_b32_e32 v28, 0x10000, v27
	s_delay_alu instid0(VALU_DEP_2) | instskip(NEXT) | instid1(VALU_DEP_1)
	v_cmp_eq_u32_e64 s0, 0, v21
	v_cndmask_b32_e64 v21, v28, v27, s0
; %bb.88:                               ;   in Loop: Header=BB10_84 Depth=1
	s_or_b32 exec_lo, exec_lo, s5
	v_and_b32_e32 v27, 0xffff0000, v22
	s_delay_alu instid0(VALU_DEP_1) | instskip(NEXT) | instid1(VALU_DEP_1)
	v_add_f32_e32 v27, v26, v27
	v_and_b32_e32 v28, 0x7f800000, v27
	s_delay_alu instid0(VALU_DEP_1) | instskip(NEXT) | instid1(VALU_DEP_1)
	v_cmp_ne_u32_e64 s0, 0x7f800000, v28
                                        ; implicit-def: $vgpr28
	s_and_saveexec_b32 s5, s0
	s_delay_alu instid0(SALU_CYCLE_1)
	s_xor_b32 s0, exec_lo, s5
; %bb.89:                               ;   in Loop: Header=BB10_84 Depth=1
	v_bfe_u32 v28, v27, 16, 1
	s_delay_alu instid0(VALU_DEP_1)
	v_add3_u32 v28, v27, v28, 0x7fff
                                        ; implicit-def: $vgpr27
; %bb.90:                               ;   in Loop: Header=BB10_84 Depth=1
	s_and_not1_saveexec_b32 s5, s0
	s_cbranch_execz .LBB10_83
; %bb.91:                               ;   in Loop: Header=BB10_84 Depth=1
	v_and_b32_e32 v28, 0xffff, v27
	v_or_b32_e32 v31, 0x10000, v27
	s_delay_alu instid0(VALU_DEP_2) | instskip(NEXT) | instid1(VALU_DEP_1)
	v_cmp_eq_u32_e64 s0, 0, v28
	v_cndmask_b32_e64 v28, v31, v27, s0
	s_branch .LBB10_83
.LBB10_92:
	s_or_b32 exec_lo, exec_lo, s4
	s_waitcnt lgkmcnt(0)
	ds_bpermute_b32 v19, v25, v10
	s_and_saveexec_b32 s4, vcc_lo
	s_cbranch_execz .LBB10_112
; %bb.93:
	v_or3_b32 v9, v30, v23, 2
	v_cmp_gt_i32_e64 s1, s21, v17
	s_delay_alu instid0(VALU_DEP_2) | instskip(NEXT) | instid1(VALU_DEP_1)
	v_cmp_gt_i32_e64 s0, s20, v9
	s_and_b32 s0, s0, s1
	s_delay_alu instid0(SALU_CYCLE_1)
	s_and_b32 exec_lo, exec_lo, s0
	s_cbranch_execz .LBB10_112
; %bb.94:
	v_and_b32_e32 v20, 0x7f800000, v10
                                        ; implicit-def: $vgpr21
	s_delay_alu instid0(VALU_DEP_1) | instskip(NEXT) | instid1(VALU_DEP_1)
	v_cmp_ne_u32_e64 s0, 0x7f800000, v20
	s_and_saveexec_b32 s1, s0
	s_delay_alu instid0(SALU_CYCLE_1)
	s_xor_b32 s0, exec_lo, s1
; %bb.95:
	v_bfe_u32 v20, v10, 16, 1
	s_delay_alu instid0(VALU_DEP_1)
	v_add3_u32 v21, v10, v20, 0x7fff
; %bb.96:
	s_and_not1_saveexec_b32 s1, s0
; %bb.97:
	v_and_b32_e32 v20, 0xffff, v10
	v_or_b32_e32 v21, 0x10000, v10
	s_delay_alu instid0(VALU_DEP_2) | instskip(NEXT) | instid1(VALU_DEP_1)
	v_cmp_eq_u32_e64 s0, 0, v20
	v_cndmask_b32_e64 v21, v21, v10, s0
; %bb.98:
	s_or_b32 exec_lo, exec_lo, s1
	s_waitcnt lgkmcnt(0)
	v_and_b32_e32 v10, 0x7f800000, v19
                                        ; implicit-def: $vgpr22
	s_delay_alu instid0(VALU_DEP_1) | instskip(NEXT) | instid1(VALU_DEP_1)
	v_cmp_ne_u32_e64 s0, 0x7f800000, v10
	s_and_saveexec_b32 s1, s0
	s_delay_alu instid0(SALU_CYCLE_1)
	s_xor_b32 s0, exec_lo, s1
; %bb.99:
	v_bfe_u32 v10, v19, 16, 1
	s_delay_alu instid0(VALU_DEP_1)
	v_add3_u32 v22, v19, v10, 0x7fff
                                        ; implicit-def: $vgpr19
; %bb.100:
	s_and_not1_saveexec_b32 s1, s0
; %bb.101:
	v_and_b32_e32 v10, 0xffff, v19
	v_or_b32_e32 v20, 0x10000, v19
	s_delay_alu instid0(VALU_DEP_2) | instskip(NEXT) | instid1(VALU_DEP_1)
	v_cmp_eq_u32_e64 s0, 0, v10
	v_cndmask_b32_e64 v22, v20, v19, s0
; %bb.102:
	s_or_b32 exec_lo, exec_lo, s1
	v_mul_lo_u32 v9, v9, s21
	v_lshlrev_b64 v[19:20], 1, v[17:18]
	v_and_b32_e32 v21, 0xffff0000, v21
	v_and_b32_e32 v22, 0xffff0000, v22
	s_mov_b32 s1, 0
	s_delay_alu instid0(VALU_DEP_4) | instskip(NEXT) | instid1(VALU_DEP_1)
	v_ashrrev_i32_e32 v10, 31, v9
	v_lshlrev_b64 v[9:10], 1, v[9:10]
	s_delay_alu instid0(VALU_DEP_1) | instskip(NEXT) | instid1(VALU_DEP_1)
	v_add_co_u32 v9, s0, s28, v9
	v_add_co_ci_u32_e64 v10, s0, s29, v10, s0
	s_delay_alu instid0(VALU_DEP_2) | instskip(NEXT) | instid1(VALU_DEP_1)
	v_add_co_u32 v9, s0, v9, v19
	v_add_co_ci_u32_e64 v10, s0, v10, v20, s0
	global_load_b32 v20, v[9:10], off
	s_branch .LBB10_104
.LBB10_103:                             ;   in Loop: Header=BB10_104 Depth=1
	s_or_b32 exec_lo, exec_lo, s5
	v_lshrrev_b32_e32 v19, 16, v19
	s_delay_alu instid0(VALU_DEP_1) | instskip(SKIP_4) | instid1(VALU_DEP_2)
	v_and_or_b32 v19, 0xffff0000, v27, v19
	global_atomic_cmpswap_b32 v19, v[9:10], v[19:20], off glc
	s_waitcnt vmcnt(0)
	v_cmp_eq_u32_e64 s0, v19, v20
	v_mov_b32_e32 v20, v19
	s_or_b32 s1, s0, s1
	s_delay_alu instid0(SALU_CYCLE_1)
	s_and_not1_b32 exec_lo, exec_lo, s1
	s_cbranch_execz .LBB10_112
.LBB10_104:                             ; =>This Inner Loop Header: Depth=1
	s_waitcnt vmcnt(0)
	v_lshlrev_b32_e32 v19, 16, v20
	s_delay_alu instid0(VALU_DEP_1) | instskip(NEXT) | instid1(VALU_DEP_1)
	v_add_f32_e32 v26, v21, v19
	v_and_b32_e32 v19, 0x7f800000, v26
	s_delay_alu instid0(VALU_DEP_1) | instskip(NEXT) | instid1(VALU_DEP_1)
	v_cmp_ne_u32_e64 s0, 0x7f800000, v19
                                        ; implicit-def: $vgpr19
	s_and_saveexec_b32 s5, s0
	s_delay_alu instid0(SALU_CYCLE_1)
	s_xor_b32 s0, exec_lo, s5
; %bb.105:                              ;   in Loop: Header=BB10_104 Depth=1
	v_bfe_u32 v19, v26, 16, 1
	s_delay_alu instid0(VALU_DEP_1)
	v_add3_u32 v19, v26, v19, 0x7fff
                                        ; implicit-def: $vgpr26
; %bb.106:                              ;   in Loop: Header=BB10_104 Depth=1
	s_and_not1_saveexec_b32 s5, s0
; %bb.107:                              ;   in Loop: Header=BB10_104 Depth=1
	v_and_b32_e32 v19, 0xffff, v26
	v_or_b32_e32 v27, 0x10000, v26
	s_delay_alu instid0(VALU_DEP_2) | instskip(NEXT) | instid1(VALU_DEP_1)
	v_cmp_eq_u32_e64 s0, 0, v19
	v_cndmask_b32_e64 v19, v27, v26, s0
; %bb.108:                              ;   in Loop: Header=BB10_104 Depth=1
	s_or_b32 exec_lo, exec_lo, s5
	v_and_b32_e32 v26, 0xffff0000, v20
	s_delay_alu instid0(VALU_DEP_1) | instskip(NEXT) | instid1(VALU_DEP_1)
	v_add_f32_e32 v26, v22, v26
	v_and_b32_e32 v27, 0x7f800000, v26
	s_delay_alu instid0(VALU_DEP_1) | instskip(NEXT) | instid1(VALU_DEP_1)
	v_cmp_ne_u32_e64 s0, 0x7f800000, v27
                                        ; implicit-def: $vgpr27
	s_and_saveexec_b32 s5, s0
	s_delay_alu instid0(SALU_CYCLE_1)
	s_xor_b32 s0, exec_lo, s5
; %bb.109:                              ;   in Loop: Header=BB10_104 Depth=1
	v_bfe_u32 v27, v26, 16, 1
	s_delay_alu instid0(VALU_DEP_1)
	v_add3_u32 v27, v26, v27, 0x7fff
                                        ; implicit-def: $vgpr26
; %bb.110:                              ;   in Loop: Header=BB10_104 Depth=1
	s_and_not1_saveexec_b32 s5, s0
	s_cbranch_execz .LBB10_103
; %bb.111:                              ;   in Loop: Header=BB10_104 Depth=1
	v_and_b32_e32 v27, 0xffff, v26
	v_or_b32_e32 v28, 0x10000, v26
	s_delay_alu instid0(VALU_DEP_2) | instskip(NEXT) | instid1(VALU_DEP_1)
	v_cmp_eq_u32_e64 s0, 0, v27
	v_cndmask_b32_e64 v27, v28, v26, s0
	s_branch .LBB10_103
.LBB10_112:
	s_or_b32 exec_lo, exec_lo, s4
	ds_bpermute_b32 v10, v25, v11
	s_and_saveexec_b32 s4, vcc_lo
	s_cbranch_execz .LBB10_132
; %bb.113:
	v_or3_b32 v9, v30, v23, 4
	v_cmp_gt_i32_e64 s1, s21, v17
	s_delay_alu instid0(VALU_DEP_2) | instskip(NEXT) | instid1(VALU_DEP_1)
	v_cmp_gt_i32_e64 s0, s20, v9
	s_and_b32 s0, s0, s1
	s_delay_alu instid0(SALU_CYCLE_1)
	s_and_b32 exec_lo, exec_lo, s0
	s_cbranch_execz .LBB10_132
; %bb.114:
	s_waitcnt lgkmcnt(1)
	v_and_b32_e32 v19, 0x7f800000, v11
	s_delay_alu instid0(VALU_DEP_1) | instskip(NEXT) | instid1(VALU_DEP_1)
	v_cmp_ne_u32_e64 s0, 0x7f800000, v19
                                        ; implicit-def: $vgpr19
	s_and_saveexec_b32 s1, s0
	s_delay_alu instid0(SALU_CYCLE_1)
	s_xor_b32 s0, exec_lo, s1
; %bb.115:
	v_bfe_u32 v19, v11, 16, 1
	s_delay_alu instid0(VALU_DEP_1)
	v_add3_u32 v19, v11, v19, 0x7fff
; %bb.116:
	s_and_not1_saveexec_b32 s1, s0
; %bb.117:
	v_and_b32_e32 v19, 0xffff, v11
	v_or_b32_e32 v20, 0x10000, v11
	s_delay_alu instid0(VALU_DEP_2) | instskip(NEXT) | instid1(VALU_DEP_1)
	v_cmp_eq_u32_e64 s0, 0, v19
	v_cndmask_b32_e64 v19, v20, v11, s0
; %bb.118:
	s_or_b32 exec_lo, exec_lo, s1
	s_waitcnt lgkmcnt(0)
	v_and_b32_e32 v11, 0x7f800000, v10
                                        ; implicit-def: $vgpr21
	s_delay_alu instid0(VALU_DEP_1) | instskip(NEXT) | instid1(VALU_DEP_1)
	v_cmp_ne_u32_e64 s0, 0x7f800000, v11
	s_and_saveexec_b32 s1, s0
	s_delay_alu instid0(SALU_CYCLE_1)
	s_xor_b32 s0, exec_lo, s1
; %bb.119:
	v_bfe_u32 v11, v10, 16, 1
	s_delay_alu instid0(VALU_DEP_1)
	v_add3_u32 v21, v10, v11, 0x7fff
                                        ; implicit-def: $vgpr10
; %bb.120:
	s_and_not1_saveexec_b32 s1, s0
; %bb.121:
	v_and_b32_e32 v11, 0xffff, v10
	v_or_b32_e32 v20, 0x10000, v10
	s_delay_alu instid0(VALU_DEP_2) | instskip(NEXT) | instid1(VALU_DEP_1)
	v_cmp_eq_u32_e64 s0, 0, v11
	v_cndmask_b32_e64 v21, v20, v10, s0
; %bb.122:
	s_or_b32 exec_lo, exec_lo, s1
	v_mul_lo_u32 v9, v9, s21
	v_lshlrev_b64 v[26:27], 1, v[17:18]
	v_and_b32_e32 v11, 0xffff0000, v19
	v_and_b32_e32 v21, 0xffff0000, v21
	s_mov_b32 s1, 0
	s_delay_alu instid0(VALU_DEP_4) | instskip(NEXT) | instid1(VALU_DEP_1)
	v_ashrrev_i32_e32 v10, 31, v9
	v_lshlrev_b64 v[9:10], 1, v[9:10]
	s_delay_alu instid0(VALU_DEP_1) | instskip(NEXT) | instid1(VALU_DEP_1)
	v_add_co_u32 v9, s0, s28, v9
	v_add_co_ci_u32_e64 v10, s0, s29, v10, s0
	s_delay_alu instid0(VALU_DEP_2) | instskip(NEXT) | instid1(VALU_DEP_1)
	v_add_co_u32 v9, s0, v9, v26
	v_add_co_ci_u32_e64 v10, s0, v10, v27, s0
	global_load_b32 v20, v[9:10], off
	s_branch .LBB10_124
.LBB10_123:                             ;   in Loop: Header=BB10_124 Depth=1
	s_or_b32 exec_lo, exec_lo, s5
	v_lshrrev_b32_e32 v19, 16, v19
	s_delay_alu instid0(VALU_DEP_1) | instskip(SKIP_4) | instid1(VALU_DEP_2)
	v_and_or_b32 v19, 0xffff0000, v26, v19
	global_atomic_cmpswap_b32 v19, v[9:10], v[19:20], off glc
	s_waitcnt vmcnt(0)
	v_cmp_eq_u32_e64 s0, v19, v20
	v_mov_b32_e32 v20, v19
	s_or_b32 s1, s0, s1
	s_delay_alu instid0(SALU_CYCLE_1)
	s_and_not1_b32 exec_lo, exec_lo, s1
	s_cbranch_execz .LBB10_132
.LBB10_124:                             ; =>This Inner Loop Header: Depth=1
	s_waitcnt vmcnt(0)
	v_lshlrev_b32_e32 v19, 16, v20
	s_delay_alu instid0(VALU_DEP_1) | instskip(NEXT) | instid1(VALU_DEP_1)
	v_add_f32_e32 v22, v11, v19
	v_and_b32_e32 v19, 0x7f800000, v22
	s_delay_alu instid0(VALU_DEP_1) | instskip(NEXT) | instid1(VALU_DEP_1)
	v_cmp_ne_u32_e64 s0, 0x7f800000, v19
                                        ; implicit-def: $vgpr19
	s_and_saveexec_b32 s5, s0
	s_delay_alu instid0(SALU_CYCLE_1)
	s_xor_b32 s0, exec_lo, s5
; %bb.125:                              ;   in Loop: Header=BB10_124 Depth=1
	v_bfe_u32 v19, v22, 16, 1
	s_delay_alu instid0(VALU_DEP_1)
	v_add3_u32 v19, v22, v19, 0x7fff
                                        ; implicit-def: $vgpr22
; %bb.126:                              ;   in Loop: Header=BB10_124 Depth=1
	s_and_not1_saveexec_b32 s5, s0
; %bb.127:                              ;   in Loop: Header=BB10_124 Depth=1
	v_and_b32_e32 v19, 0xffff, v22
	v_or_b32_e32 v26, 0x10000, v22
	s_delay_alu instid0(VALU_DEP_2) | instskip(NEXT) | instid1(VALU_DEP_1)
	v_cmp_eq_u32_e64 s0, 0, v19
	v_cndmask_b32_e64 v19, v26, v22, s0
; %bb.128:                              ;   in Loop: Header=BB10_124 Depth=1
	s_or_b32 exec_lo, exec_lo, s5
	v_and_b32_e32 v22, 0xffff0000, v20
	s_delay_alu instid0(VALU_DEP_1) | instskip(NEXT) | instid1(VALU_DEP_1)
	v_add_f32_e32 v22, v21, v22
	v_and_b32_e32 v26, 0x7f800000, v22
	s_delay_alu instid0(VALU_DEP_1) | instskip(NEXT) | instid1(VALU_DEP_1)
	v_cmp_ne_u32_e64 s0, 0x7f800000, v26
                                        ; implicit-def: $vgpr26
	s_and_saveexec_b32 s5, s0
	s_delay_alu instid0(SALU_CYCLE_1)
	s_xor_b32 s0, exec_lo, s5
; %bb.129:                              ;   in Loop: Header=BB10_124 Depth=1
	v_bfe_u32 v26, v22, 16, 1
	s_delay_alu instid0(VALU_DEP_1)
	v_add3_u32 v26, v22, v26, 0x7fff
                                        ; implicit-def: $vgpr22
; %bb.130:                              ;   in Loop: Header=BB10_124 Depth=1
	s_and_not1_saveexec_b32 s5, s0
	s_cbranch_execz .LBB10_123
; %bb.131:                              ;   in Loop: Header=BB10_124 Depth=1
	v_and_b32_e32 v26, 0xffff, v22
	v_or_b32_e32 v27, 0x10000, v22
	s_delay_alu instid0(VALU_DEP_2) | instskip(NEXT) | instid1(VALU_DEP_1)
	v_cmp_eq_u32_e64 s0, 0, v26
	v_cndmask_b32_e64 v26, v27, v22, s0
	s_branch .LBB10_123
.LBB10_132:
	s_or_b32 exec_lo, exec_lo, s4
	s_waitcnt lgkmcnt(0)
	ds_bpermute_b32 v10, v25, v12
	s_and_saveexec_b32 s4, vcc_lo
	s_cbranch_execz .LBB10_152
; %bb.133:
	v_or3_b32 v9, v30, v23, 6
	v_cmp_gt_i32_e64 s1, s21, v17
	s_delay_alu instid0(VALU_DEP_2) | instskip(NEXT) | instid1(VALU_DEP_1)
	v_cmp_gt_i32_e64 s0, s20, v9
	s_and_b32 s0, s0, s1
	s_delay_alu instid0(SALU_CYCLE_1)
	s_and_b32 exec_lo, exec_lo, s0
	s_cbranch_execz .LBB10_152
; %bb.134:
	v_and_b32_e32 v11, 0x7f800000, v12
	s_delay_alu instid0(VALU_DEP_1) | instskip(NEXT) | instid1(VALU_DEP_1)
	v_cmp_ne_u32_e64 s0, 0x7f800000, v11
                                        ; implicit-def: $vgpr11
	s_and_saveexec_b32 s1, s0
	s_delay_alu instid0(SALU_CYCLE_1)
	s_xor_b32 s0, exec_lo, s1
; %bb.135:
	v_bfe_u32 v11, v12, 16, 1
	s_delay_alu instid0(VALU_DEP_1)
	v_add3_u32 v11, v12, v11, 0x7fff
; %bb.136:
	s_and_not1_saveexec_b32 s1, s0
; %bb.137:
	v_and_b32_e32 v11, 0xffff, v12
	v_or_b32_e32 v19, 0x10000, v12
	s_delay_alu instid0(VALU_DEP_2) | instskip(NEXT) | instid1(VALU_DEP_1)
	v_cmp_eq_u32_e64 s0, 0, v11
	v_cndmask_b32_e64 v11, v19, v12, s0
; %bb.138:
	s_or_b32 exec_lo, exec_lo, s1
	s_waitcnt lgkmcnt(0)
	v_and_b32_e32 v12, 0x7f800000, v10
                                        ; implicit-def: $vgpr20
	s_delay_alu instid0(VALU_DEP_1) | instskip(NEXT) | instid1(VALU_DEP_1)
	v_cmp_ne_u32_e64 s0, 0x7f800000, v12
	s_and_saveexec_b32 s1, s0
	s_delay_alu instid0(SALU_CYCLE_1)
	s_xor_b32 s0, exec_lo, s1
; %bb.139:
	v_bfe_u32 v12, v10, 16, 1
	s_delay_alu instid0(VALU_DEP_1)
	v_add3_u32 v20, v10, v12, 0x7fff
                                        ; implicit-def: $vgpr10
; %bb.140:
	s_and_not1_saveexec_b32 s1, s0
; %bb.141:
	v_and_b32_e32 v12, 0xffff, v10
	v_or_b32_e32 v19, 0x10000, v10
	s_delay_alu instid0(VALU_DEP_2) | instskip(NEXT) | instid1(VALU_DEP_1)
	v_cmp_eq_u32_e64 s0, 0, v12
	v_cndmask_b32_e64 v20, v19, v10, s0
; %bb.142:
	s_or_b32 exec_lo, exec_lo, s1
	v_mul_lo_u32 v9, v9, s21
	v_lshlrev_b64 v[21:22], 1, v[17:18]
	v_and_b32_e32 v19, 0xffff0000, v11
	v_and_b32_e32 v20, 0xffff0000, v20
	s_mov_b32 s1, 0
	s_delay_alu instid0(VALU_DEP_4) | instskip(NEXT) | instid1(VALU_DEP_1)
	v_ashrrev_i32_e32 v10, 31, v9
	v_lshlrev_b64 v[9:10], 1, v[9:10]
	s_delay_alu instid0(VALU_DEP_1) | instskip(NEXT) | instid1(VALU_DEP_1)
	v_add_co_u32 v9, s0, s28, v9
	v_add_co_ci_u32_e64 v10, s0, s29, v10, s0
	s_delay_alu instid0(VALU_DEP_2) | instskip(NEXT) | instid1(VALU_DEP_1)
	v_add_co_u32 v9, s0, v9, v21
	v_add_co_ci_u32_e64 v10, s0, v10, v22, s0
	global_load_b32 v12, v[9:10], off
	s_branch .LBB10_144
.LBB10_143:                             ;   in Loop: Header=BB10_144 Depth=1
	s_or_b32 exec_lo, exec_lo, s5
	v_lshrrev_b32_e32 v11, 16, v11
	s_delay_alu instid0(VALU_DEP_1) | instskip(SKIP_4) | instid1(VALU_DEP_2)
	v_and_or_b32 v11, 0xffff0000, v22, v11
	global_atomic_cmpswap_b32 v11, v[9:10], v[11:12], off glc
	s_waitcnt vmcnt(0)
	v_cmp_eq_u32_e64 s0, v11, v12
	v_mov_b32_e32 v12, v11
	s_or_b32 s1, s0, s1
	s_delay_alu instid0(SALU_CYCLE_1)
	s_and_not1_b32 exec_lo, exec_lo, s1
	s_cbranch_execz .LBB10_152
.LBB10_144:                             ; =>This Inner Loop Header: Depth=1
	s_waitcnt vmcnt(0)
	v_lshlrev_b32_e32 v11, 16, v12
	s_delay_alu instid0(VALU_DEP_1) | instskip(NEXT) | instid1(VALU_DEP_1)
	v_add_f32_e32 v21, v19, v11
	v_and_b32_e32 v11, 0x7f800000, v21
	s_delay_alu instid0(VALU_DEP_1) | instskip(NEXT) | instid1(VALU_DEP_1)
	v_cmp_ne_u32_e64 s0, 0x7f800000, v11
                                        ; implicit-def: $vgpr11
	s_and_saveexec_b32 s5, s0
	s_delay_alu instid0(SALU_CYCLE_1)
	s_xor_b32 s0, exec_lo, s5
; %bb.145:                              ;   in Loop: Header=BB10_144 Depth=1
	v_bfe_u32 v11, v21, 16, 1
	s_delay_alu instid0(VALU_DEP_1)
	v_add3_u32 v11, v21, v11, 0x7fff
                                        ; implicit-def: $vgpr21
; %bb.146:                              ;   in Loop: Header=BB10_144 Depth=1
	s_and_not1_saveexec_b32 s5, s0
; %bb.147:                              ;   in Loop: Header=BB10_144 Depth=1
	v_and_b32_e32 v11, 0xffff, v21
	v_or_b32_e32 v22, 0x10000, v21
	s_delay_alu instid0(VALU_DEP_2) | instskip(NEXT) | instid1(VALU_DEP_1)
	v_cmp_eq_u32_e64 s0, 0, v11
	v_cndmask_b32_e64 v11, v22, v21, s0
; %bb.148:                              ;   in Loop: Header=BB10_144 Depth=1
	s_or_b32 exec_lo, exec_lo, s5
	v_and_b32_e32 v21, 0xffff0000, v12
	s_delay_alu instid0(VALU_DEP_1) | instskip(NEXT) | instid1(VALU_DEP_1)
	v_add_f32_e32 v21, v20, v21
	v_and_b32_e32 v22, 0x7f800000, v21
	s_delay_alu instid0(VALU_DEP_1) | instskip(NEXT) | instid1(VALU_DEP_1)
	v_cmp_ne_u32_e64 s0, 0x7f800000, v22
                                        ; implicit-def: $vgpr22
	s_and_saveexec_b32 s5, s0
	s_delay_alu instid0(SALU_CYCLE_1)
	s_xor_b32 s0, exec_lo, s5
; %bb.149:                              ;   in Loop: Header=BB10_144 Depth=1
	v_bfe_u32 v22, v21, 16, 1
	s_delay_alu instid0(VALU_DEP_1)
	v_add3_u32 v22, v21, v22, 0x7fff
                                        ; implicit-def: $vgpr21
; %bb.150:                              ;   in Loop: Header=BB10_144 Depth=1
	s_and_not1_saveexec_b32 s5, s0
	s_cbranch_execz .LBB10_143
; %bb.151:                              ;   in Loop: Header=BB10_144 Depth=1
	v_and_b32_e32 v22, 0xffff, v21
	v_or_b32_e32 v26, 0x10000, v21
	s_delay_alu instid0(VALU_DEP_2) | instskip(NEXT) | instid1(VALU_DEP_1)
	v_cmp_eq_u32_e64 s0, 0, v22
	v_cndmask_b32_e64 v22, v26, v21, s0
	s_branch .LBB10_143
.LBB10_152:
	s_or_b32 exec_lo, exec_lo, s4
	s_waitcnt lgkmcnt(0)
	ds_bpermute_b32 v10, v25, v13
	s_and_saveexec_b32 s4, vcc_lo
	s_cbranch_execz .LBB10_172
; %bb.153:
	v_or3_b32 v9, v30, v23, 8
	v_cmp_gt_i32_e64 s1, s21, v17
	s_delay_alu instid0(VALU_DEP_2) | instskip(NEXT) | instid1(VALU_DEP_1)
	v_cmp_gt_i32_e64 s0, s20, v9
	s_and_b32 s0, s0, s1
	s_delay_alu instid0(SALU_CYCLE_1)
	s_and_b32 exec_lo, exec_lo, s0
	s_cbranch_execz .LBB10_172
; %bb.154:
	v_and_b32_e32 v11, 0x7f800000, v13
	s_delay_alu instid0(VALU_DEP_1) | instskip(NEXT) | instid1(VALU_DEP_1)
	v_cmp_ne_u32_e64 s0, 0x7f800000, v11
                                        ; implicit-def: $vgpr11
	s_and_saveexec_b32 s1, s0
	s_delay_alu instid0(SALU_CYCLE_1)
	s_xor_b32 s0, exec_lo, s1
; %bb.155:
	v_bfe_u32 v11, v13, 16, 1
	s_delay_alu instid0(VALU_DEP_1)
	v_add3_u32 v11, v13, v11, 0x7fff
; %bb.156:
	s_and_not1_saveexec_b32 s1, s0
; %bb.157:
	v_and_b32_e32 v11, 0xffff, v13
	v_or_b32_e32 v12, 0x10000, v13
	s_delay_alu instid0(VALU_DEP_2) | instskip(NEXT) | instid1(VALU_DEP_1)
	v_cmp_eq_u32_e64 s0, 0, v11
	v_cndmask_b32_e64 v11, v12, v13, s0
; %bb.158:
	s_or_b32 exec_lo, exec_lo, s1
	s_waitcnt lgkmcnt(0)
	v_and_b32_e32 v12, 0x7f800000, v10
                                        ; implicit-def: $vgpr19
	s_delay_alu instid0(VALU_DEP_1) | instskip(NEXT) | instid1(VALU_DEP_1)
	v_cmp_ne_u32_e64 s0, 0x7f800000, v12
	s_and_saveexec_b32 s1, s0
	s_delay_alu instid0(SALU_CYCLE_1)
	s_xor_b32 s0, exec_lo, s1
; %bb.159:
	v_bfe_u32 v12, v10, 16, 1
	s_delay_alu instid0(VALU_DEP_1)
	v_add3_u32 v19, v10, v12, 0x7fff
                                        ; implicit-def: $vgpr10
; %bb.160:
	s_and_not1_saveexec_b32 s1, s0
; %bb.161:
	v_and_b32_e32 v12, 0xffff, v10
	v_or_b32_e32 v13, 0x10000, v10
	s_delay_alu instid0(VALU_DEP_2) | instskip(NEXT) | instid1(VALU_DEP_1)
	v_cmp_eq_u32_e64 s0, 0, v12
	v_cndmask_b32_e64 v19, v13, v10, s0
; %bb.162:
	s_or_b32 exec_lo, exec_lo, s1
	v_mul_lo_u32 v9, v9, s21
	v_lshlrev_b64 v[12:13], 1, v[17:18]
	s_delay_alu instid0(VALU_DEP_3) | instskip(SKIP_1) | instid1(VALU_DEP_3)
	v_and_b32_e32 v19, 0xffff0000, v19
	s_mov_b32 s1, 0
	v_ashrrev_i32_e32 v10, 31, v9
	s_delay_alu instid0(VALU_DEP_1) | instskip(NEXT) | instid1(VALU_DEP_1)
	v_lshlrev_b64 v[9:10], 1, v[9:10]
	v_add_co_u32 v9, s0, s28, v9
	s_delay_alu instid0(VALU_DEP_1) | instskip(NEXT) | instid1(VALU_DEP_2)
	v_add_co_ci_u32_e64 v10, s0, s29, v10, s0
	v_add_co_u32 v9, s0, v9, v12
	s_delay_alu instid0(VALU_DEP_1)
	v_add_co_ci_u32_e64 v10, s0, v10, v13, s0
	v_and_b32_e32 v13, 0xffff0000, v11
	global_load_b32 v12, v[9:10], off
	s_branch .LBB10_164
.LBB10_163:                             ;   in Loop: Header=BB10_164 Depth=1
	s_or_b32 exec_lo, exec_lo, s5
	v_lshrrev_b32_e32 v11, 16, v11
	s_delay_alu instid0(VALU_DEP_1) | instskip(SKIP_4) | instid1(VALU_DEP_2)
	v_and_or_b32 v11, 0xffff0000, v21, v11
	global_atomic_cmpswap_b32 v11, v[9:10], v[11:12], off glc
	s_waitcnt vmcnt(0)
	v_cmp_eq_u32_e64 s0, v11, v12
	v_mov_b32_e32 v12, v11
	s_or_b32 s1, s0, s1
	s_delay_alu instid0(SALU_CYCLE_1)
	s_and_not1_b32 exec_lo, exec_lo, s1
	s_cbranch_execz .LBB10_172
.LBB10_164:                             ; =>This Inner Loop Header: Depth=1
	s_waitcnt vmcnt(0)
	v_lshlrev_b32_e32 v11, 16, v12
	s_delay_alu instid0(VALU_DEP_1) | instskip(NEXT) | instid1(VALU_DEP_1)
	v_add_f32_e32 v20, v13, v11
	v_and_b32_e32 v11, 0x7f800000, v20
	s_delay_alu instid0(VALU_DEP_1) | instskip(NEXT) | instid1(VALU_DEP_1)
	v_cmp_ne_u32_e64 s0, 0x7f800000, v11
                                        ; implicit-def: $vgpr11
	s_and_saveexec_b32 s5, s0
	s_delay_alu instid0(SALU_CYCLE_1)
	s_xor_b32 s0, exec_lo, s5
; %bb.165:                              ;   in Loop: Header=BB10_164 Depth=1
	v_bfe_u32 v11, v20, 16, 1
	s_delay_alu instid0(VALU_DEP_1)
	v_add3_u32 v11, v20, v11, 0x7fff
                                        ; implicit-def: $vgpr20
; %bb.166:                              ;   in Loop: Header=BB10_164 Depth=1
	s_and_not1_saveexec_b32 s5, s0
; %bb.167:                              ;   in Loop: Header=BB10_164 Depth=1
	v_and_b32_e32 v11, 0xffff, v20
	v_or_b32_e32 v21, 0x10000, v20
	s_delay_alu instid0(VALU_DEP_2) | instskip(NEXT) | instid1(VALU_DEP_1)
	v_cmp_eq_u32_e64 s0, 0, v11
	v_cndmask_b32_e64 v11, v21, v20, s0
; %bb.168:                              ;   in Loop: Header=BB10_164 Depth=1
	s_or_b32 exec_lo, exec_lo, s5
	v_and_b32_e32 v20, 0xffff0000, v12
	s_delay_alu instid0(VALU_DEP_1) | instskip(NEXT) | instid1(VALU_DEP_1)
	v_add_f32_e32 v20, v19, v20
	v_and_b32_e32 v21, 0x7f800000, v20
	s_delay_alu instid0(VALU_DEP_1) | instskip(NEXT) | instid1(VALU_DEP_1)
	v_cmp_ne_u32_e64 s0, 0x7f800000, v21
                                        ; implicit-def: $vgpr21
	s_and_saveexec_b32 s5, s0
	s_delay_alu instid0(SALU_CYCLE_1)
	s_xor_b32 s0, exec_lo, s5
; %bb.169:                              ;   in Loop: Header=BB10_164 Depth=1
	v_bfe_u32 v21, v20, 16, 1
	s_delay_alu instid0(VALU_DEP_1)
	v_add3_u32 v21, v20, v21, 0x7fff
                                        ; implicit-def: $vgpr20
; %bb.170:                              ;   in Loop: Header=BB10_164 Depth=1
	s_and_not1_saveexec_b32 s5, s0
	s_cbranch_execz .LBB10_163
; %bb.171:                              ;   in Loop: Header=BB10_164 Depth=1
	v_and_b32_e32 v21, 0xffff, v20
	v_or_b32_e32 v22, 0x10000, v20
	s_delay_alu instid0(VALU_DEP_2) | instskip(NEXT) | instid1(VALU_DEP_1)
	v_cmp_eq_u32_e64 s0, 0, v21
	v_cndmask_b32_e64 v21, v22, v20, s0
	s_branch .LBB10_163
.LBB10_172:
	s_or_b32 exec_lo, exec_lo, s4
	s_waitcnt lgkmcnt(0)
	ds_bpermute_b32 v10, v25, v14
	s_and_saveexec_b32 s4, vcc_lo
	s_cbranch_execz .LBB10_192
; %bb.173:
	v_or3_b32 v9, v30, v23, 10
	v_cmp_gt_i32_e64 s1, s21, v17
	s_delay_alu instid0(VALU_DEP_2) | instskip(NEXT) | instid1(VALU_DEP_1)
	v_cmp_gt_i32_e64 s0, s20, v9
	s_and_b32 s0, s0, s1
	s_delay_alu instid0(SALU_CYCLE_1)
	s_and_b32 exec_lo, exec_lo, s0
	s_cbranch_execz .LBB10_192
; %bb.174:
	v_and_b32_e32 v11, 0x7f800000, v14
	s_delay_alu instid0(VALU_DEP_1) | instskip(NEXT) | instid1(VALU_DEP_1)
	v_cmp_ne_u32_e64 s0, 0x7f800000, v11
                                        ; implicit-def: $vgpr11
	s_and_saveexec_b32 s1, s0
	s_delay_alu instid0(SALU_CYCLE_1)
	s_xor_b32 s0, exec_lo, s1
; %bb.175:
	v_bfe_u32 v11, v14, 16, 1
	s_delay_alu instid0(VALU_DEP_1)
	v_add3_u32 v11, v14, v11, 0x7fff
; %bb.176:
	s_and_not1_saveexec_b32 s1, s0
; %bb.177:
	v_and_b32_e32 v11, 0xffff, v14
	v_or_b32_e32 v12, 0x10000, v14
	s_delay_alu instid0(VALU_DEP_2) | instskip(NEXT) | instid1(VALU_DEP_1)
	v_cmp_eq_u32_e64 s0, 0, v11
	v_cndmask_b32_e64 v11, v12, v14, s0
; %bb.178:
	s_or_b32 exec_lo, exec_lo, s1
	s_waitcnt lgkmcnt(0)
	v_and_b32_e32 v12, 0x7f800000, v10
                                        ; implicit-def: $vgpr14
	s_delay_alu instid0(VALU_DEP_1) | instskip(NEXT) | instid1(VALU_DEP_1)
	v_cmp_ne_u32_e64 s0, 0x7f800000, v12
	s_and_saveexec_b32 s1, s0
	s_delay_alu instid0(SALU_CYCLE_1)
	s_xor_b32 s0, exec_lo, s1
; %bb.179:
	v_bfe_u32 v12, v10, 16, 1
	s_delay_alu instid0(VALU_DEP_1)
	v_add3_u32 v14, v10, v12, 0x7fff
                                        ; implicit-def: $vgpr10
; %bb.180:
	s_and_not1_saveexec_b32 s1, s0
; %bb.181:
	v_and_b32_e32 v12, 0xffff, v10
	v_or_b32_e32 v13, 0x10000, v10
	s_delay_alu instid0(VALU_DEP_2) | instskip(NEXT) | instid1(VALU_DEP_1)
	v_cmp_eq_u32_e64 s0, 0, v12
	v_cndmask_b32_e64 v14, v13, v10, s0
; %bb.182:
	s_or_b32 exec_lo, exec_lo, s1
	v_mul_lo_u32 v9, v9, s21
	v_lshlrev_b64 v[12:13], 1, v[17:18]
	s_delay_alu instid0(VALU_DEP_3) | instskip(SKIP_1) | instid1(VALU_DEP_3)
	v_and_b32_e32 v14, 0xffff0000, v14
	s_mov_b32 s1, 0
	v_ashrrev_i32_e32 v10, 31, v9
	s_delay_alu instid0(VALU_DEP_1) | instskip(NEXT) | instid1(VALU_DEP_1)
	v_lshlrev_b64 v[9:10], 1, v[9:10]
	v_add_co_u32 v9, s0, s28, v9
	s_delay_alu instid0(VALU_DEP_1) | instskip(NEXT) | instid1(VALU_DEP_2)
	v_add_co_ci_u32_e64 v10, s0, s29, v10, s0
	v_add_co_u32 v9, s0, v9, v12
	s_delay_alu instid0(VALU_DEP_1)
	v_add_co_ci_u32_e64 v10, s0, v10, v13, s0
	v_and_b32_e32 v13, 0xffff0000, v11
	global_load_b32 v12, v[9:10], off
	s_branch .LBB10_184
.LBB10_183:                             ;   in Loop: Header=BB10_184 Depth=1
	s_or_b32 exec_lo, exec_lo, s5
	v_lshrrev_b32_e32 v11, 16, v11
	s_delay_alu instid0(VALU_DEP_1) | instskip(SKIP_4) | instid1(VALU_DEP_2)
	v_and_or_b32 v11, 0xffff0000, v20, v11
	global_atomic_cmpswap_b32 v11, v[9:10], v[11:12], off glc
	s_waitcnt vmcnt(0)
	v_cmp_eq_u32_e64 s0, v11, v12
	v_mov_b32_e32 v12, v11
	s_or_b32 s1, s0, s1
	s_delay_alu instid0(SALU_CYCLE_1)
	s_and_not1_b32 exec_lo, exec_lo, s1
	s_cbranch_execz .LBB10_192
.LBB10_184:                             ; =>This Inner Loop Header: Depth=1
	s_waitcnt vmcnt(0)
	v_lshlrev_b32_e32 v11, 16, v12
	s_delay_alu instid0(VALU_DEP_1) | instskip(NEXT) | instid1(VALU_DEP_1)
	v_add_f32_e32 v19, v13, v11
	v_and_b32_e32 v11, 0x7f800000, v19
	s_delay_alu instid0(VALU_DEP_1) | instskip(NEXT) | instid1(VALU_DEP_1)
	v_cmp_ne_u32_e64 s0, 0x7f800000, v11
                                        ; implicit-def: $vgpr11
	s_and_saveexec_b32 s5, s0
	s_delay_alu instid0(SALU_CYCLE_1)
	s_xor_b32 s0, exec_lo, s5
; %bb.185:                              ;   in Loop: Header=BB10_184 Depth=1
	v_bfe_u32 v11, v19, 16, 1
	s_delay_alu instid0(VALU_DEP_1)
	v_add3_u32 v11, v19, v11, 0x7fff
                                        ; implicit-def: $vgpr19
; %bb.186:                              ;   in Loop: Header=BB10_184 Depth=1
	s_and_not1_saveexec_b32 s5, s0
; %bb.187:                              ;   in Loop: Header=BB10_184 Depth=1
	v_and_b32_e32 v11, 0xffff, v19
	v_or_b32_e32 v20, 0x10000, v19
	s_delay_alu instid0(VALU_DEP_2) | instskip(NEXT) | instid1(VALU_DEP_1)
	v_cmp_eq_u32_e64 s0, 0, v11
	v_cndmask_b32_e64 v11, v20, v19, s0
; %bb.188:                              ;   in Loop: Header=BB10_184 Depth=1
	s_or_b32 exec_lo, exec_lo, s5
	v_and_b32_e32 v19, 0xffff0000, v12
	s_delay_alu instid0(VALU_DEP_1) | instskip(NEXT) | instid1(VALU_DEP_1)
	v_add_f32_e32 v19, v14, v19
	v_and_b32_e32 v20, 0x7f800000, v19
	s_delay_alu instid0(VALU_DEP_1) | instskip(NEXT) | instid1(VALU_DEP_1)
	v_cmp_ne_u32_e64 s0, 0x7f800000, v20
                                        ; implicit-def: $vgpr20
	s_and_saveexec_b32 s5, s0
	s_delay_alu instid0(SALU_CYCLE_1)
	s_xor_b32 s0, exec_lo, s5
; %bb.189:                              ;   in Loop: Header=BB10_184 Depth=1
	v_bfe_u32 v20, v19, 16, 1
	s_delay_alu instid0(VALU_DEP_1)
	v_add3_u32 v20, v19, v20, 0x7fff
                                        ; implicit-def: $vgpr19
; %bb.190:                              ;   in Loop: Header=BB10_184 Depth=1
	s_and_not1_saveexec_b32 s5, s0
	s_cbranch_execz .LBB10_183
; %bb.191:                              ;   in Loop: Header=BB10_184 Depth=1
	v_and_b32_e32 v20, 0xffff, v19
	v_or_b32_e32 v21, 0x10000, v19
	s_delay_alu instid0(VALU_DEP_2) | instskip(NEXT) | instid1(VALU_DEP_1)
	v_cmp_eq_u32_e64 s0, 0, v20
	v_cndmask_b32_e64 v20, v21, v19, s0
	s_branch .LBB10_183
.LBB10_192:
	s_or_b32 exec_lo, exec_lo, s4
	s_waitcnt lgkmcnt(0)
	ds_bpermute_b32 v10, v25, v15
	s_and_saveexec_b32 s4, vcc_lo
	s_cbranch_execz .LBB10_212
; %bb.193:
	v_or3_b32 v9, v30, v23, 12
	v_cmp_gt_i32_e64 s1, s21, v17
	s_delay_alu instid0(VALU_DEP_2) | instskip(NEXT) | instid1(VALU_DEP_1)
	v_cmp_gt_i32_e64 s0, s20, v9
	s_and_b32 s0, s0, s1
	s_delay_alu instid0(SALU_CYCLE_1)
	s_and_b32 exec_lo, exec_lo, s0
	s_cbranch_execz .LBB10_212
; %bb.194:
	v_and_b32_e32 v11, 0x7f800000, v15
	s_delay_alu instid0(VALU_DEP_1) | instskip(NEXT) | instid1(VALU_DEP_1)
	v_cmp_ne_u32_e64 s0, 0x7f800000, v11
                                        ; implicit-def: $vgpr11
	s_and_saveexec_b32 s1, s0
	s_delay_alu instid0(SALU_CYCLE_1)
	s_xor_b32 s0, exec_lo, s1
; %bb.195:
	v_bfe_u32 v11, v15, 16, 1
	s_delay_alu instid0(VALU_DEP_1)
	v_add3_u32 v11, v15, v11, 0x7fff
; %bb.196:
	s_and_not1_saveexec_b32 s1, s0
; %bb.197:
	v_and_b32_e32 v11, 0xffff, v15
	v_or_b32_e32 v12, 0x10000, v15
	s_delay_alu instid0(VALU_DEP_2) | instskip(NEXT) | instid1(VALU_DEP_1)
	v_cmp_eq_u32_e64 s0, 0, v11
	v_cndmask_b32_e64 v11, v12, v15, s0
; %bb.198:
	s_or_b32 exec_lo, exec_lo, s1
	s_waitcnt lgkmcnt(0)
	v_and_b32_e32 v12, 0x7f800000, v10
                                        ; implicit-def: $vgpr14
	s_delay_alu instid0(VALU_DEP_1) | instskip(NEXT) | instid1(VALU_DEP_1)
	v_cmp_ne_u32_e64 s0, 0x7f800000, v12
	s_and_saveexec_b32 s1, s0
	s_delay_alu instid0(SALU_CYCLE_1)
	s_xor_b32 s0, exec_lo, s1
; %bb.199:
	v_bfe_u32 v12, v10, 16, 1
	s_delay_alu instid0(VALU_DEP_1)
	v_add3_u32 v14, v10, v12, 0x7fff
                                        ; implicit-def: $vgpr10
; %bb.200:
	s_and_not1_saveexec_b32 s1, s0
; %bb.201:
	v_and_b32_e32 v12, 0xffff, v10
	v_or_b32_e32 v13, 0x10000, v10
	s_delay_alu instid0(VALU_DEP_2) | instskip(NEXT) | instid1(VALU_DEP_1)
	v_cmp_eq_u32_e64 s0, 0, v12
	v_cndmask_b32_e64 v14, v13, v10, s0
; %bb.202:
	s_or_b32 exec_lo, exec_lo, s1
	v_mul_lo_u32 v9, v9, s21
	v_lshlrev_b64 v[12:13], 1, v[17:18]
	s_delay_alu instid0(VALU_DEP_3) | instskip(SKIP_1) | instid1(VALU_DEP_3)
	v_and_b32_e32 v14, 0xffff0000, v14
	s_mov_b32 s1, 0
	v_ashrrev_i32_e32 v10, 31, v9
	s_delay_alu instid0(VALU_DEP_1) | instskip(NEXT) | instid1(VALU_DEP_1)
	v_lshlrev_b64 v[9:10], 1, v[9:10]
	v_add_co_u32 v9, s0, s28, v9
	s_delay_alu instid0(VALU_DEP_1) | instskip(NEXT) | instid1(VALU_DEP_2)
	v_add_co_ci_u32_e64 v10, s0, s29, v10, s0
	v_add_co_u32 v9, s0, v9, v12
	s_delay_alu instid0(VALU_DEP_1)
	v_add_co_ci_u32_e64 v10, s0, v10, v13, s0
	v_and_b32_e32 v13, 0xffff0000, v11
	global_load_b32 v12, v[9:10], off
	s_branch .LBB10_204
.LBB10_203:                             ;   in Loop: Header=BB10_204 Depth=1
	s_or_b32 exec_lo, exec_lo, s5
	v_lshrrev_b32_e32 v11, 16, v11
	s_delay_alu instid0(VALU_DEP_1) | instskip(SKIP_4) | instid1(VALU_DEP_2)
	v_and_or_b32 v11, 0xffff0000, v19, v11
	global_atomic_cmpswap_b32 v11, v[9:10], v[11:12], off glc
	s_waitcnt vmcnt(0)
	v_cmp_eq_u32_e64 s0, v11, v12
	v_mov_b32_e32 v12, v11
	s_or_b32 s1, s0, s1
	s_delay_alu instid0(SALU_CYCLE_1)
	s_and_not1_b32 exec_lo, exec_lo, s1
	s_cbranch_execz .LBB10_212
.LBB10_204:                             ; =>This Inner Loop Header: Depth=1
	s_waitcnt vmcnt(0)
	v_lshlrev_b32_e32 v11, 16, v12
	s_delay_alu instid0(VALU_DEP_1) | instskip(NEXT) | instid1(VALU_DEP_1)
	v_add_f32_e32 v15, v13, v11
	v_and_b32_e32 v11, 0x7f800000, v15
	s_delay_alu instid0(VALU_DEP_1) | instskip(NEXT) | instid1(VALU_DEP_1)
	v_cmp_ne_u32_e64 s0, 0x7f800000, v11
                                        ; implicit-def: $vgpr11
	s_and_saveexec_b32 s5, s0
	s_delay_alu instid0(SALU_CYCLE_1)
	s_xor_b32 s0, exec_lo, s5
; %bb.205:                              ;   in Loop: Header=BB10_204 Depth=1
	v_bfe_u32 v11, v15, 16, 1
	s_delay_alu instid0(VALU_DEP_1)
	v_add3_u32 v11, v15, v11, 0x7fff
                                        ; implicit-def: $vgpr15
; %bb.206:                              ;   in Loop: Header=BB10_204 Depth=1
	s_and_not1_saveexec_b32 s5, s0
; %bb.207:                              ;   in Loop: Header=BB10_204 Depth=1
	v_and_b32_e32 v11, 0xffff, v15
	v_or_b32_e32 v19, 0x10000, v15
	s_delay_alu instid0(VALU_DEP_2) | instskip(NEXT) | instid1(VALU_DEP_1)
	v_cmp_eq_u32_e64 s0, 0, v11
	v_cndmask_b32_e64 v11, v19, v15, s0
; %bb.208:                              ;   in Loop: Header=BB10_204 Depth=1
	s_or_b32 exec_lo, exec_lo, s5
	v_and_b32_e32 v15, 0xffff0000, v12
	s_delay_alu instid0(VALU_DEP_1) | instskip(NEXT) | instid1(VALU_DEP_1)
	v_add_f32_e32 v15, v14, v15
	v_and_b32_e32 v19, 0x7f800000, v15
	s_delay_alu instid0(VALU_DEP_1) | instskip(NEXT) | instid1(VALU_DEP_1)
	v_cmp_ne_u32_e64 s0, 0x7f800000, v19
                                        ; implicit-def: $vgpr19
	s_and_saveexec_b32 s5, s0
	s_delay_alu instid0(SALU_CYCLE_1)
	s_xor_b32 s0, exec_lo, s5
; %bb.209:                              ;   in Loop: Header=BB10_204 Depth=1
	v_bfe_u32 v19, v15, 16, 1
	s_delay_alu instid0(VALU_DEP_1)
	v_add3_u32 v19, v15, v19, 0x7fff
                                        ; implicit-def: $vgpr15
; %bb.210:                              ;   in Loop: Header=BB10_204 Depth=1
	s_and_not1_saveexec_b32 s5, s0
	s_cbranch_execz .LBB10_203
; %bb.211:                              ;   in Loop: Header=BB10_204 Depth=1
	v_and_b32_e32 v19, 0xffff, v15
	v_or_b32_e32 v20, 0x10000, v15
	s_delay_alu instid0(VALU_DEP_2) | instskip(NEXT) | instid1(VALU_DEP_1)
	v_cmp_eq_u32_e64 s0, 0, v19
	v_cndmask_b32_e64 v19, v20, v15, s0
	s_branch .LBB10_203
.LBB10_212:
	s_or_b32 exec_lo, exec_lo, s4
	ds_bpermute_b32 v20, v25, v16
	s_and_saveexec_b32 s1, vcc_lo
	s_cbranch_execz .LBB10_232
; %bb.213:
	v_or3_b32 v19, v30, v23, 14
	v_cmp_gt_i32_e64 s0, s21, v17
	s_delay_alu instid0(VALU_DEP_2) | instskip(NEXT) | instid1(VALU_DEP_2)
	v_cmp_gt_i32_e32 vcc_lo, s20, v19
	s_and_b32 s0, vcc_lo, s0
	s_delay_alu instid0(SALU_CYCLE_1)
	s_and_b32 exec_lo, exec_lo, s0
	s_cbranch_execz .LBB10_232
; %bb.214:
	v_and_b32_e32 v9, 0x7f800000, v16
	s_mov_b32 s0, exec_lo
                                        ; implicit-def: $vgpr21
	s_delay_alu instid0(VALU_DEP_1)
	v_cmpx_ne_u32_e32 0x7f800000, v9
	s_xor_b32 s0, exec_lo, s0
; %bb.215:
	v_bfe_u32 v9, v16, 16, 1
	s_delay_alu instid0(VALU_DEP_1)
	v_add3_u32 v21, v16, v9, 0x7fff
                                        ; implicit-def: $vgpr9_vgpr10_vgpr11_vgpr12_vgpr13_vgpr14_vgpr15_vgpr16
; %bb.216:
	s_and_not1_saveexec_b32 s0, s0
	s_cbranch_execz .LBB10_218
; %bb.217:
	v_and_b32_e32 v9, 0xffff, v16
	s_waitcnt lgkmcnt(1)
	v_or_b32_e32 v10, 0x10000, v16
	s_delay_alu instid0(VALU_DEP_2) | instskip(NEXT) | instid1(VALU_DEP_2)
	v_cmp_eq_u32_e32 vcc_lo, 0, v9
	v_cndmask_b32_e32 v21, v10, v16, vcc_lo
.LBB10_218:
	s_or_b32 exec_lo, exec_lo, s0
	s_waitcnt lgkmcnt(0)
	v_and_b32_e32 v9, 0x7f800000, v20
	s_mov_b32 s0, exec_lo
                                        ; implicit-def: $vgpr11
	s_delay_alu instid0(VALU_DEP_1)
	v_cmpx_ne_u32_e32 0x7f800000, v9
	s_xor_b32 s0, exec_lo, s0
; %bb.219:
	v_bfe_u32 v9, v20, 16, 1
	s_delay_alu instid0(VALU_DEP_1)
	v_add3_u32 v11, v20, v9, 0x7fff
                                        ; implicit-def: $vgpr20
; %bb.220:
	s_and_not1_saveexec_b32 s0, s0
; %bb.221:
	v_and_b32_e32 v9, 0xffff, v20
	v_or_b32_e32 v10, 0x10000, v20
	s_delay_alu instid0(VALU_DEP_2) | instskip(NEXT) | instid1(VALU_DEP_2)
	v_cmp_eq_u32_e32 vcc_lo, 0, v9
	v_cndmask_b32_e32 v11, v10, v20, vcc_lo
; %bb.222:
	s_or_b32 exec_lo, exec_lo, s0
	v_mul_lo_u32 v9, v19, s21
	v_lshlrev_b64 v[12:13], 1, v[17:18]
	s_delay_alu instid0(VALU_DEP_3) | instskip(SKIP_1) | instid1(VALU_DEP_3)
	v_and_b32_e32 v14, 0xffff0000, v11
	s_mov_b32 s0, 0
	v_ashrrev_i32_e32 v10, 31, v9
	s_delay_alu instid0(VALU_DEP_1) | instskip(NEXT) | instid1(VALU_DEP_1)
	v_lshlrev_b64 v[9:10], 1, v[9:10]
	v_add_co_u32 v9, vcc_lo, s28, v9
	s_delay_alu instid0(VALU_DEP_2) | instskip(NEXT) | instid1(VALU_DEP_2)
	v_add_co_ci_u32_e32 v10, vcc_lo, s29, v10, vcc_lo
	v_add_co_u32 v9, vcc_lo, v9, v12
	s_delay_alu instid0(VALU_DEP_2)
	v_add_co_ci_u32_e32 v10, vcc_lo, v10, v13, vcc_lo
	v_and_b32_e32 v13, 0xffff0000, v21
	global_load_b32 v12, v[9:10], off
	s_branch .LBB10_224
.LBB10_223:                             ;   in Loop: Header=BB10_224 Depth=1
	s_or_b32 exec_lo, exec_lo, s4
	v_lshrrev_b32_e32 v11, 16, v11
	s_delay_alu instid0(VALU_DEP_1)
	v_and_or_b32 v11, 0xffff0000, v16, v11
	global_atomic_cmpswap_b32 v11, v[9:10], v[11:12], off glc
	s_waitcnt vmcnt(0)
	v_cmp_eq_u32_e32 vcc_lo, v11, v12
	v_mov_b32_e32 v12, v11
	s_or_b32 s0, vcc_lo, s0
	s_delay_alu instid0(SALU_CYCLE_1)
	s_and_not1_b32 exec_lo, exec_lo, s0
	s_cbranch_execz .LBB10_232
.LBB10_224:                             ; =>This Inner Loop Header: Depth=1
	s_waitcnt vmcnt(0)
	v_lshlrev_b32_e32 v11, 16, v12
	s_delay_alu instid0(VALU_DEP_1) | instskip(NEXT) | instid1(VALU_DEP_1)
	v_add_f32_e32 v15, v13, v11
	v_and_b32_e32 v11, 0x7f800000, v15
	s_delay_alu instid0(VALU_DEP_1) | instskip(SKIP_1) | instid1(SALU_CYCLE_1)
	v_cmp_ne_u32_e32 vcc_lo, 0x7f800000, v11
                                        ; implicit-def: $vgpr11
	s_and_saveexec_b32 s4, vcc_lo
	s_xor_b32 s4, exec_lo, s4
; %bb.225:                              ;   in Loop: Header=BB10_224 Depth=1
	v_bfe_u32 v11, v15, 16, 1
	s_delay_alu instid0(VALU_DEP_1)
	v_add3_u32 v11, v15, v11, 0x7fff
                                        ; implicit-def: $vgpr15
; %bb.226:                              ;   in Loop: Header=BB10_224 Depth=1
	s_and_not1_saveexec_b32 s4, s4
; %bb.227:                              ;   in Loop: Header=BB10_224 Depth=1
	v_and_b32_e32 v11, 0xffff, v15
	v_or_b32_e32 v16, 0x10000, v15
	s_delay_alu instid0(VALU_DEP_2) | instskip(NEXT) | instid1(VALU_DEP_2)
	v_cmp_eq_u32_e32 vcc_lo, 0, v11
	v_cndmask_b32_e32 v11, v16, v15, vcc_lo
; %bb.228:                              ;   in Loop: Header=BB10_224 Depth=1
	s_or_b32 exec_lo, exec_lo, s4
	v_and_b32_e32 v15, 0xffff0000, v12
	s_delay_alu instid0(VALU_DEP_1) | instskip(NEXT) | instid1(VALU_DEP_1)
	v_add_f32_e32 v15, v14, v15
	v_and_b32_e32 v16, 0x7f800000, v15
	s_delay_alu instid0(VALU_DEP_1) | instskip(SKIP_1) | instid1(SALU_CYCLE_1)
	v_cmp_ne_u32_e32 vcc_lo, 0x7f800000, v16
                                        ; implicit-def: $vgpr16
	s_and_saveexec_b32 s4, vcc_lo
	s_xor_b32 s4, exec_lo, s4
; %bb.229:                              ;   in Loop: Header=BB10_224 Depth=1
	v_bfe_u32 v16, v15, 16, 1
	s_delay_alu instid0(VALU_DEP_1)
	v_add3_u32 v16, v15, v16, 0x7fff
                                        ; implicit-def: $vgpr15
; %bb.230:                              ;   in Loop: Header=BB10_224 Depth=1
	s_and_not1_saveexec_b32 s4, s4
	s_cbranch_execz .LBB10_223
; %bb.231:                              ;   in Loop: Header=BB10_224 Depth=1
	v_and_b32_e32 v16, 0xffff, v15
	v_or_b32_e32 v17, 0x10000, v15
	s_delay_alu instid0(VALU_DEP_2) | instskip(NEXT) | instid1(VALU_DEP_2)
	v_cmp_eq_u32_e32 vcc_lo, 0, v16
	v_cndmask_b32_e32 v16, v17, v15, vcc_lo
	s_branch .LBB10_223
.LBB10_232:
	s_or_b32 exec_lo, exec_lo, s1
.LBB10_233:
	s_or_b32 s0, s3, 16
	s_and_b32 vcc_lo, exec_lo, s2
	v_or_b32_e32 v11, s0, v29
	s_mov_b32 s1, -1
	s_delay_alu instid0(VALU_DEP_1)
	v_cmp_gt_i32_e64 s0, s21, v11
	s_cbranch_vccz .LBB10_284
; %bb.234:
	s_delay_alu instid0(VALU_DEP_1)
	s_and_saveexec_b32 s1, s0
	s_cbranch_execz .LBB10_283
; %bb.235:
	v_or_b32_e32 v9, v23, v30
	s_mov_b32 s0, exec_lo
	s_delay_alu instid0(VALU_DEP_1)
	v_cmpx_gt_i32_e64 s20, v9
	s_cbranch_execz .LBB10_241
; %bb.236:
	s_waitcnt lgkmcnt(0)
	v_and_b32_e32 v10, 0x7f800000, v1
	s_delay_alu instid0(VALU_DEP_1) | instskip(SKIP_1) | instid1(SALU_CYCLE_1)
	v_cmp_ne_u32_e32 vcc_lo, 0x7f800000, v10
                                        ; implicit-def: $vgpr10
	s_and_saveexec_b32 s2, vcc_lo
	s_xor_b32 s2, exec_lo, s2
; %bb.237:
	v_bfe_u32 v10, v1, 16, 1
	s_delay_alu instid0(VALU_DEP_1)
	v_add3_u32 v10, v1, v10, 0x7fff
; %bb.238:
	s_and_not1_saveexec_b32 s2, s2
; %bb.239:
	v_and_b32_e32 v10, 0xffff, v1
	v_or_b32_e32 v12, 0x10000, v1
	s_delay_alu instid0(VALU_DEP_2) | instskip(NEXT) | instid1(VALU_DEP_2)
	v_cmp_eq_u32_e32 vcc_lo, 0, v10
	v_cndmask_b32_e32 v10, v12, v1, vcc_lo
; %bb.240:
	s_or_b32 exec_lo, exec_lo, s2
	v_mul_lo_u32 v12, v9, s21
	s_ashr_i32 s2, s3, 31
	v_add_co_u32 v14, s4, s3, v29
	s_delay_alu instid0(VALU_DEP_1) | instskip(NEXT) | instid1(VALU_DEP_3)
	v_add_co_ci_u32_e64 v15, null, s2, 0, s4
	v_ashrrev_i32_e32 v13, 31, v12
	s_delay_alu instid0(VALU_DEP_2) | instskip(NEXT) | instid1(VALU_DEP_2)
	v_lshlrev_b64 v[14:15], 1, v[14:15]
	v_lshlrev_b64 v[12:13], 1, v[12:13]
	s_delay_alu instid0(VALU_DEP_1) | instskip(NEXT) | instid1(VALU_DEP_2)
	v_add_co_u32 v12, vcc_lo, s28, v12
	v_add_co_ci_u32_e32 v13, vcc_lo, s29, v13, vcc_lo
	s_delay_alu instid0(VALU_DEP_2) | instskip(NEXT) | instid1(VALU_DEP_2)
	v_add_co_u32 v12, vcc_lo, v12, v14
	v_add_co_ci_u32_e32 v13, vcc_lo, v13, v15, vcc_lo
	global_store_d16_hi_b16 v[12:13], v10, off offset:32
.LBB10_241:
	s_or_b32 exec_lo, exec_lo, s0
	v_or_b32_e32 v12, 2, v9
	s_mov_b32 s0, exec_lo
	s_delay_alu instid0(VALU_DEP_1)
	v_cmpx_gt_i32_e64 s20, v12
	s_cbranch_execz .LBB10_247
; %bb.242:
	s_waitcnt lgkmcnt(0)
	v_and_b32_e32 v10, 0x7f800000, v2
	s_delay_alu instid0(VALU_DEP_1) | instskip(SKIP_1) | instid1(SALU_CYCLE_1)
	v_cmp_ne_u32_e32 vcc_lo, 0x7f800000, v10
                                        ; implicit-def: $vgpr10
	s_and_saveexec_b32 s2, vcc_lo
	s_xor_b32 s2, exec_lo, s2
; %bb.243:
	v_bfe_u32 v10, v2, 16, 1
	s_delay_alu instid0(VALU_DEP_1)
	v_add3_u32 v10, v2, v10, 0x7fff
; %bb.244:
	s_and_not1_saveexec_b32 s2, s2
; %bb.245:
	v_and_b32_e32 v10, 0xffff, v2
	v_or_b32_e32 v13, 0x10000, v2
	s_delay_alu instid0(VALU_DEP_2) | instskip(NEXT) | instid1(VALU_DEP_2)
	v_cmp_eq_u32_e32 vcc_lo, 0, v10
	v_cndmask_b32_e32 v10, v13, v2, vcc_lo
; %bb.246:
	s_or_b32 exec_lo, exec_lo, s2
	v_mul_lo_u32 v12, v12, s21
	s_ashr_i32 s2, s3, 31
	v_add_co_u32 v14, s4, s3, v29
	s_delay_alu instid0(VALU_DEP_1) | instskip(NEXT) | instid1(VALU_DEP_3)
	v_add_co_ci_u32_e64 v15, null, s2, 0, s4
	v_ashrrev_i32_e32 v13, 31, v12
	s_delay_alu instid0(VALU_DEP_2) | instskip(NEXT) | instid1(VALU_DEP_2)
	v_lshlrev_b64 v[14:15], 1, v[14:15]
	v_lshlrev_b64 v[12:13], 1, v[12:13]
	s_delay_alu instid0(VALU_DEP_1) | instskip(NEXT) | instid1(VALU_DEP_2)
	v_add_co_u32 v12, vcc_lo, s28, v12
	v_add_co_ci_u32_e32 v13, vcc_lo, s29, v13, vcc_lo
	s_delay_alu instid0(VALU_DEP_2) | instskip(NEXT) | instid1(VALU_DEP_2)
	v_add_co_u32 v12, vcc_lo, v12, v14
	v_add_co_ci_u32_e32 v13, vcc_lo, v13, v15, vcc_lo
	global_store_d16_hi_b16 v[12:13], v10, off offset:32
.LBB10_247:
	s_or_b32 exec_lo, exec_lo, s0
	;; [unrolled: 45-line block ×7, first 2 shown]
	s_waitcnt lgkmcnt(0)
	v_or_b32_e32 v10, 14, v9
	s_delay_alu instid0(VALU_DEP_1)
	v_cmp_gt_i32_e32 vcc_lo, s20, v10
	s_and_b32 exec_lo, exec_lo, vcc_lo
	s_cbranch_execz .LBB10_283
; %bb.278:
	v_and_b32_e32 v9, 0x7f800000, v8
	s_delay_alu instid0(VALU_DEP_1) | instskip(SKIP_1) | instid1(SALU_CYCLE_1)
	v_cmp_ne_u32_e32 vcc_lo, 0x7f800000, v9
                                        ; implicit-def: $vgpr9
	s_and_saveexec_b32 s0, vcc_lo
	s_xor_b32 s0, exec_lo, s0
; %bb.279:
	v_bfe_u32 v9, v8, 16, 1
	s_delay_alu instid0(VALU_DEP_1)
	v_add3_u32 v9, v8, v9, 0x7fff
; %bb.280:
	s_and_not1_saveexec_b32 s0, s0
; %bb.281:
	v_and_b32_e32 v9, 0xffff, v8
	v_or_b32_e32 v12, 0x10000, v8
	s_delay_alu instid0(VALU_DEP_2) | instskip(NEXT) | instid1(VALU_DEP_2)
	v_cmp_eq_u32_e32 vcc_lo, 0, v9
	v_cndmask_b32_e32 v9, v12, v8, vcc_lo
; %bb.282:
	s_or_b32 exec_lo, exec_lo, s0
	v_mul_lo_u32 v12, v10, s21
	s_ashr_i32 s0, s3, 31
	v_add_co_u32 v14, s2, s3, v29
	s_delay_alu instid0(VALU_DEP_1) | instskip(NEXT) | instid1(VALU_DEP_3)
	v_add_co_ci_u32_e64 v15, null, s0, 0, s2
	v_ashrrev_i32_e32 v13, 31, v12
	s_delay_alu instid0(VALU_DEP_2) | instskip(NEXT) | instid1(VALU_DEP_2)
	v_lshlrev_b64 v[14:15], 1, v[14:15]
	v_lshlrev_b64 v[12:13], 1, v[12:13]
	s_delay_alu instid0(VALU_DEP_1) | instskip(NEXT) | instid1(VALU_DEP_2)
	v_add_co_u32 v10, vcc_lo, s28, v12
	v_add_co_ci_u32_e32 v13, vcc_lo, s29, v13, vcc_lo
	s_delay_alu instid0(VALU_DEP_2) | instskip(NEXT) | instid1(VALU_DEP_2)
	v_add_co_u32 v12, vcc_lo, v10, v14
	v_add_co_ci_u32_e32 v13, vcc_lo, v13, v15, vcc_lo
	global_store_d16_hi_b16 v[12:13], v9, off offset:32
.LBB10_283:
	s_or_b32 exec_lo, exec_lo, s1
	s_mov_b32 s1, 0
.LBB10_284:
	s_delay_alu instid0(SALU_CYCLE_1)
	s_and_not1_b32 vcc_lo, exec_lo, s1
	s_cbranch_vccnz .LBB10_445
; %bb.285:
	v_xor_b32_e32 v9, 1, v24
	s_delay_alu instid0(VALU_DEP_1) | instskip(SKIP_2) | instid1(VALU_DEP_2)
	v_cmp_gt_i32_e32 vcc_lo, 32, v9
	v_cndmask_b32_e32 v9, v24, v9, vcc_lo
	v_cmp_eq_u32_e32 vcc_lo, 0, v0
	v_lshlrev_b32_e32 v12, 2, v9
	s_waitcnt lgkmcnt(0)
	ds_bpermute_b32 v10, v12, v1
	s_and_saveexec_b32 s2, vcc_lo
	s_cbranch_execz .LBB10_305
; %bb.286:
	v_or_b32_e32 v0, v23, v30
	v_cmp_gt_i32_e64 s1, s21, v11
	s_delay_alu instid0(VALU_DEP_2) | instskip(NEXT) | instid1(VALU_DEP_1)
	v_cmp_gt_i32_e64 s0, s20, v0
	s_and_b32 s0, s0, s1
	s_delay_alu instid0(SALU_CYCLE_1)
	s_and_b32 exec_lo, exec_lo, s0
	s_cbranch_execz .LBB10_305
; %bb.287:
	v_and_b32_e32 v9, 0x7f800000, v1
	s_delay_alu instid0(VALU_DEP_1) | instskip(NEXT) | instid1(VALU_DEP_1)
	v_cmp_ne_u32_e64 s0, 0x7f800000, v9
                                        ; implicit-def: $vgpr9
	s_and_saveexec_b32 s1, s0
	s_delay_alu instid0(SALU_CYCLE_1)
	s_xor_b32 s0, exec_lo, s1
; %bb.288:
	v_bfe_u32 v9, v1, 16, 1
	s_delay_alu instid0(VALU_DEP_1)
	v_add3_u32 v9, v1, v9, 0x7fff
; %bb.289:
	s_and_not1_saveexec_b32 s1, s0
; %bb.290:
	v_and_b32_e32 v9, 0xffff, v1
	v_or_b32_e32 v13, 0x10000, v1
	s_delay_alu instid0(VALU_DEP_2) | instskip(NEXT) | instid1(VALU_DEP_1)
	v_cmp_eq_u32_e64 s0, 0, v9
	v_cndmask_b32_e64 v9, v13, v1, s0
; %bb.291:
	s_or_b32 exec_lo, exec_lo, s1
	s_waitcnt lgkmcnt(0)
	v_and_b32_e32 v1, 0x7f800000, v10
                                        ; implicit-def: $vgpr14
	s_delay_alu instid0(VALU_DEP_1) | instskip(NEXT) | instid1(VALU_DEP_1)
	v_cmp_ne_u32_e64 s0, 0x7f800000, v1
	s_and_saveexec_b32 s1, s0
	s_delay_alu instid0(SALU_CYCLE_1)
	s_xor_b32 s0, exec_lo, s1
; %bb.292:
	v_bfe_u32 v1, v10, 16, 1
	s_delay_alu instid0(VALU_DEP_1)
	v_add3_u32 v14, v10, v1, 0x7fff
                                        ; implicit-def: $vgpr10
; %bb.293:
	s_and_not1_saveexec_b32 s1, s0
; %bb.294:
	v_and_b32_e32 v1, 0xffff, v10
	v_or_b32_e32 v13, 0x10000, v10
	s_delay_alu instid0(VALU_DEP_2) | instskip(NEXT) | instid1(VALU_DEP_1)
	v_cmp_eq_u32_e64 s0, 0, v1
	v_cndmask_b32_e64 v14, v13, v10, s0
; %bb.295:
	s_or_b32 exec_lo, exec_lo, s1
	v_mul_lo_u32 v0, v0, s21
	s_ashr_i32 s0, s3, 31
	v_add_co_u32 v15, s1, s3, v29
	s_delay_alu instid0(VALU_DEP_1) | instskip(SKIP_3) | instid1(VALU_DEP_4)
	v_add_co_ci_u32_e64 v16, null, s0, 0, s1
	v_and_b32_e32 v13, 0xffff0000, v9
	v_and_b32_e32 v14, 0xffff0000, v14
	v_ashrrev_i32_e32 v1, 31, v0
	v_lshlrev_b64 v[15:16], 1, v[15:16]
	s_mov_b32 s1, 0
	s_delay_alu instid0(VALU_DEP_2) | instskip(NEXT) | instid1(VALU_DEP_1)
	v_lshlrev_b64 v[0:1], 1, v[0:1]
	v_add_co_u32 v0, s0, s28, v0
	s_delay_alu instid0(VALU_DEP_1) | instskip(NEXT) | instid1(VALU_DEP_2)
	v_add_co_ci_u32_e64 v1, s0, s29, v1, s0
	v_add_co_u32 v0, s0, v0, v15
	s_delay_alu instid0(VALU_DEP_1)
	v_add_co_ci_u32_e64 v1, s0, v1, v16, s0
	global_load_b32 v10, v[0:1], off offset:32
	s_branch .LBB10_297
.LBB10_296:                             ;   in Loop: Header=BB10_297 Depth=1
	s_or_b32 exec_lo, exec_lo, s4
	v_lshrrev_b32_e32 v9, 16, v9
	s_delay_alu instid0(VALU_DEP_1) | instskip(SKIP_4) | instid1(VALU_DEP_2)
	v_and_or_b32 v9, 0xffff0000, v16, v9
	global_atomic_cmpswap_b32 v9, v[0:1], v[9:10], off offset:32 glc
	s_waitcnt vmcnt(0)
	v_cmp_eq_u32_e64 s0, v9, v10
	v_mov_b32_e32 v10, v9
	s_or_b32 s1, s0, s1
	s_delay_alu instid0(SALU_CYCLE_1)
	s_and_not1_b32 exec_lo, exec_lo, s1
	s_cbranch_execz .LBB10_305
.LBB10_297:                             ; =>This Inner Loop Header: Depth=1
	s_waitcnt vmcnt(0)
	v_lshlrev_b32_e32 v9, 16, v10
	s_delay_alu instid0(VALU_DEP_1) | instskip(NEXT) | instid1(VALU_DEP_1)
	v_add_f32_e32 v15, v13, v9
	v_and_b32_e32 v9, 0x7f800000, v15
	s_delay_alu instid0(VALU_DEP_1) | instskip(NEXT) | instid1(VALU_DEP_1)
	v_cmp_ne_u32_e64 s0, 0x7f800000, v9
                                        ; implicit-def: $vgpr9
	s_and_saveexec_b32 s4, s0
	s_delay_alu instid0(SALU_CYCLE_1)
	s_xor_b32 s0, exec_lo, s4
; %bb.298:                              ;   in Loop: Header=BB10_297 Depth=1
	v_bfe_u32 v9, v15, 16, 1
	s_delay_alu instid0(VALU_DEP_1)
	v_add3_u32 v9, v15, v9, 0x7fff
                                        ; implicit-def: $vgpr15
; %bb.299:                              ;   in Loop: Header=BB10_297 Depth=1
	s_and_not1_saveexec_b32 s4, s0
; %bb.300:                              ;   in Loop: Header=BB10_297 Depth=1
	v_and_b32_e32 v9, 0xffff, v15
	v_or_b32_e32 v16, 0x10000, v15
	s_delay_alu instid0(VALU_DEP_2) | instskip(NEXT) | instid1(VALU_DEP_1)
	v_cmp_eq_u32_e64 s0, 0, v9
	v_cndmask_b32_e64 v9, v16, v15, s0
; %bb.301:                              ;   in Loop: Header=BB10_297 Depth=1
	s_or_b32 exec_lo, exec_lo, s4
	v_and_b32_e32 v15, 0xffff0000, v10
	s_delay_alu instid0(VALU_DEP_1) | instskip(NEXT) | instid1(VALU_DEP_1)
	v_add_f32_e32 v15, v14, v15
	v_and_b32_e32 v16, 0x7f800000, v15
	s_delay_alu instid0(VALU_DEP_1) | instskip(NEXT) | instid1(VALU_DEP_1)
	v_cmp_ne_u32_e64 s0, 0x7f800000, v16
                                        ; implicit-def: $vgpr16
	s_and_saveexec_b32 s4, s0
	s_delay_alu instid0(SALU_CYCLE_1)
	s_xor_b32 s0, exec_lo, s4
; %bb.302:                              ;   in Loop: Header=BB10_297 Depth=1
	v_bfe_u32 v16, v15, 16, 1
	s_delay_alu instid0(VALU_DEP_1)
	v_add3_u32 v16, v15, v16, 0x7fff
                                        ; implicit-def: $vgpr15
; %bb.303:                              ;   in Loop: Header=BB10_297 Depth=1
	s_and_not1_saveexec_b32 s4, s0
	s_cbranch_execz .LBB10_296
; %bb.304:                              ;   in Loop: Header=BB10_297 Depth=1
	v_and_b32_e32 v16, 0xffff, v15
	v_or_b32_e32 v17, 0x10000, v15
	s_delay_alu instid0(VALU_DEP_2) | instskip(NEXT) | instid1(VALU_DEP_1)
	v_cmp_eq_u32_e64 s0, 0, v16
	v_cndmask_b32_e64 v16, v17, v15, s0
	s_branch .LBB10_296
.LBB10_305:
	s_or_b32 exec_lo, exec_lo, s2
	ds_bpermute_b32 v1, v12, v2
	s_and_saveexec_b32 s2, vcc_lo
	s_cbranch_execz .LBB10_325
; %bb.306:
	v_or3_b32 v0, v30, v23, 2
	v_cmp_gt_i32_e64 s1, s21, v11
	s_delay_alu instid0(VALU_DEP_2) | instskip(NEXT) | instid1(VALU_DEP_1)
	v_cmp_gt_i32_e64 s0, s20, v0
	s_and_b32 s0, s0, s1
	s_delay_alu instid0(SALU_CYCLE_1)
	s_and_b32 exec_lo, exec_lo, s0
	s_cbranch_execz .LBB10_325
; %bb.307:
	v_and_b32_e32 v9, 0x7f800000, v2
	s_delay_alu instid0(VALU_DEP_1) | instskip(NEXT) | instid1(VALU_DEP_1)
	v_cmp_ne_u32_e64 s0, 0x7f800000, v9
                                        ; implicit-def: $vgpr9
	s_and_saveexec_b32 s1, s0
	s_delay_alu instid0(SALU_CYCLE_1)
	s_xor_b32 s0, exec_lo, s1
; %bb.308:
	v_bfe_u32 v9, v2, 16, 1
	s_delay_alu instid0(VALU_DEP_1)
	v_add3_u32 v9, v2, v9, 0x7fff
; %bb.309:
	s_and_not1_saveexec_b32 s1, s0
	s_cbranch_execz .LBB10_311
; %bb.310:
	v_and_b32_e32 v9, 0xffff, v2
	s_waitcnt lgkmcnt(1)
	v_or_b32_e32 v10, 0x10000, v2
	s_delay_alu instid0(VALU_DEP_2) | instskip(NEXT) | instid1(VALU_DEP_1)
	v_cmp_eq_u32_e64 s0, 0, v9
	v_cndmask_b32_e64 v9, v10, v2, s0
.LBB10_311:
	s_or_b32 exec_lo, exec_lo, s1
	s_waitcnt lgkmcnt(0)
	v_and_b32_e32 v2, 0x7f800000, v1
                                        ; implicit-def: $vgpr13
	s_delay_alu instid0(VALU_DEP_1) | instskip(NEXT) | instid1(VALU_DEP_1)
	v_cmp_ne_u32_e64 s0, 0x7f800000, v2
	s_and_saveexec_b32 s1, s0
	s_delay_alu instid0(SALU_CYCLE_1)
	s_xor_b32 s0, exec_lo, s1
; %bb.312:
	v_bfe_u32 v2, v1, 16, 1
	s_delay_alu instid0(VALU_DEP_1)
	v_add3_u32 v13, v1, v2, 0x7fff
                                        ; implicit-def: $vgpr1
; %bb.313:
	s_and_not1_saveexec_b32 s1, s0
; %bb.314:
	v_and_b32_e32 v2, 0xffff, v1
	v_or_b32_e32 v10, 0x10000, v1
	s_delay_alu instid0(VALU_DEP_2) | instskip(NEXT) | instid1(VALU_DEP_1)
	v_cmp_eq_u32_e64 s0, 0, v2
	v_cndmask_b32_e64 v13, v10, v1, s0
; %bb.315:
	s_or_b32 exec_lo, exec_lo, s1
	v_mul_lo_u32 v0, v0, s21
	s_ashr_i32 s0, s3, 31
	v_add_co_u32 v14, s1, s3, v29
	s_delay_alu instid0(VALU_DEP_1) | instskip(SKIP_3) | instid1(VALU_DEP_4)
	v_add_co_ci_u32_e64 v15, null, s0, 0, s1
	v_and_b32_e32 v2, 0xffff0000, v9
	v_and_b32_e32 v13, 0xffff0000, v13
	v_ashrrev_i32_e32 v1, 31, v0
	v_lshlrev_b64 v[14:15], 1, v[14:15]
	s_mov_b32 s1, 0
	s_delay_alu instid0(VALU_DEP_2) | instskip(NEXT) | instid1(VALU_DEP_1)
	v_lshlrev_b64 v[0:1], 1, v[0:1]
	v_add_co_u32 v0, s0, s28, v0
	s_delay_alu instid0(VALU_DEP_1) | instskip(NEXT) | instid1(VALU_DEP_2)
	v_add_co_ci_u32_e64 v1, s0, s29, v1, s0
	v_add_co_u32 v0, s0, v0, v14
	s_delay_alu instid0(VALU_DEP_1)
	v_add_co_ci_u32_e64 v1, s0, v1, v15, s0
	global_load_b32 v10, v[0:1], off offset:32
	s_branch .LBB10_317
.LBB10_316:                             ;   in Loop: Header=BB10_317 Depth=1
	s_or_b32 exec_lo, exec_lo, s4
	v_lshrrev_b32_e32 v9, 16, v9
	s_delay_alu instid0(VALU_DEP_1) | instskip(SKIP_4) | instid1(VALU_DEP_2)
	v_and_or_b32 v9, 0xffff0000, v15, v9
	global_atomic_cmpswap_b32 v9, v[0:1], v[9:10], off offset:32 glc
	s_waitcnt vmcnt(0)
	v_cmp_eq_u32_e64 s0, v9, v10
	v_mov_b32_e32 v10, v9
	s_or_b32 s1, s0, s1
	s_delay_alu instid0(SALU_CYCLE_1)
	s_and_not1_b32 exec_lo, exec_lo, s1
	s_cbranch_execz .LBB10_325
.LBB10_317:                             ; =>This Inner Loop Header: Depth=1
	s_waitcnt vmcnt(0)
	v_lshlrev_b32_e32 v9, 16, v10
	s_delay_alu instid0(VALU_DEP_1) | instskip(NEXT) | instid1(VALU_DEP_1)
	v_add_f32_e32 v14, v2, v9
	v_and_b32_e32 v9, 0x7f800000, v14
	s_delay_alu instid0(VALU_DEP_1) | instskip(NEXT) | instid1(VALU_DEP_1)
	v_cmp_ne_u32_e64 s0, 0x7f800000, v9
                                        ; implicit-def: $vgpr9
	s_and_saveexec_b32 s4, s0
	s_delay_alu instid0(SALU_CYCLE_1)
	s_xor_b32 s0, exec_lo, s4
; %bb.318:                              ;   in Loop: Header=BB10_317 Depth=1
	v_bfe_u32 v9, v14, 16, 1
	s_delay_alu instid0(VALU_DEP_1)
	v_add3_u32 v9, v14, v9, 0x7fff
                                        ; implicit-def: $vgpr14
; %bb.319:                              ;   in Loop: Header=BB10_317 Depth=1
	s_and_not1_saveexec_b32 s4, s0
; %bb.320:                              ;   in Loop: Header=BB10_317 Depth=1
	v_and_b32_e32 v9, 0xffff, v14
	v_or_b32_e32 v15, 0x10000, v14
	s_delay_alu instid0(VALU_DEP_2) | instskip(NEXT) | instid1(VALU_DEP_1)
	v_cmp_eq_u32_e64 s0, 0, v9
	v_cndmask_b32_e64 v9, v15, v14, s0
; %bb.321:                              ;   in Loop: Header=BB10_317 Depth=1
	s_or_b32 exec_lo, exec_lo, s4
	v_and_b32_e32 v14, 0xffff0000, v10
	s_delay_alu instid0(VALU_DEP_1) | instskip(NEXT) | instid1(VALU_DEP_1)
	v_add_f32_e32 v14, v13, v14
	v_and_b32_e32 v15, 0x7f800000, v14
	s_delay_alu instid0(VALU_DEP_1) | instskip(NEXT) | instid1(VALU_DEP_1)
	v_cmp_ne_u32_e64 s0, 0x7f800000, v15
                                        ; implicit-def: $vgpr15
	s_and_saveexec_b32 s4, s0
	s_delay_alu instid0(SALU_CYCLE_1)
	s_xor_b32 s0, exec_lo, s4
; %bb.322:                              ;   in Loop: Header=BB10_317 Depth=1
	v_bfe_u32 v15, v14, 16, 1
	s_delay_alu instid0(VALU_DEP_1)
	v_add3_u32 v15, v14, v15, 0x7fff
                                        ; implicit-def: $vgpr14
; %bb.323:                              ;   in Loop: Header=BB10_317 Depth=1
	s_and_not1_saveexec_b32 s4, s0
	s_cbranch_execz .LBB10_316
; %bb.324:                              ;   in Loop: Header=BB10_317 Depth=1
	v_and_b32_e32 v15, 0xffff, v14
	v_or_b32_e32 v16, 0x10000, v14
	s_delay_alu instid0(VALU_DEP_2) | instskip(NEXT) | instid1(VALU_DEP_1)
	v_cmp_eq_u32_e64 s0, 0, v15
	v_cndmask_b32_e64 v15, v16, v14, s0
	s_branch .LBB10_316
.LBB10_325:
	s_or_b32 exec_lo, exec_lo, s2
	s_waitcnt lgkmcnt(0)
	ds_bpermute_b32 v1, v12, v3
	s_and_saveexec_b32 s2, vcc_lo
	s_cbranch_execz .LBB10_345
; %bb.326:
	v_or3_b32 v0, v30, v23, 4
	v_cmp_gt_i32_e64 s1, s21, v11
	s_delay_alu instid0(VALU_DEP_2) | instskip(NEXT) | instid1(VALU_DEP_1)
	v_cmp_gt_i32_e64 s0, s20, v0
	s_and_b32 s0, s0, s1
	s_delay_alu instid0(SALU_CYCLE_1)
	s_and_b32 exec_lo, exec_lo, s0
	s_cbranch_execz .LBB10_345
; %bb.327:
	v_and_b32_e32 v2, 0x7f800000, v3
	s_delay_alu instid0(VALU_DEP_1) | instskip(NEXT) | instid1(VALU_DEP_1)
	v_cmp_ne_u32_e64 s0, 0x7f800000, v2
                                        ; implicit-def: $vgpr2
	s_and_saveexec_b32 s1, s0
	s_delay_alu instid0(SALU_CYCLE_1)
	s_xor_b32 s0, exec_lo, s1
; %bb.328:
	v_bfe_u32 v2, v3, 16, 1
	s_delay_alu instid0(VALU_DEP_1)
	v_add3_u32 v2, v3, v2, 0x7fff
; %bb.329:
	s_and_not1_saveexec_b32 s1, s0
; %bb.330:
	v_and_b32_e32 v2, 0xffff, v3
	v_or_b32_e32 v9, 0x10000, v3
	s_delay_alu instid0(VALU_DEP_2) | instskip(NEXT) | instid1(VALU_DEP_1)
	v_cmp_eq_u32_e64 s0, 0, v2
	v_cndmask_b32_e64 v2, v9, v3, s0
; %bb.331:
	s_or_b32 exec_lo, exec_lo, s1
	s_waitcnt lgkmcnt(0)
	v_and_b32_e32 v3, 0x7f800000, v1
                                        ; implicit-def: $vgpr10
	s_delay_alu instid0(VALU_DEP_1) | instskip(NEXT) | instid1(VALU_DEP_1)
	v_cmp_ne_u32_e64 s0, 0x7f800000, v3
	s_and_saveexec_b32 s1, s0
	s_delay_alu instid0(SALU_CYCLE_1)
	s_xor_b32 s0, exec_lo, s1
; %bb.332:
	v_bfe_u32 v3, v1, 16, 1
	s_delay_alu instid0(VALU_DEP_1)
	v_add3_u32 v10, v1, v3, 0x7fff
                                        ; implicit-def: $vgpr1
; %bb.333:
	s_and_not1_saveexec_b32 s1, s0
; %bb.334:
	v_and_b32_e32 v3, 0xffff, v1
	v_or_b32_e32 v9, 0x10000, v1
	s_delay_alu instid0(VALU_DEP_2) | instskip(NEXT) | instid1(VALU_DEP_1)
	v_cmp_eq_u32_e64 s0, 0, v3
	v_cndmask_b32_e64 v10, v9, v1, s0
; %bb.335:
	s_or_b32 exec_lo, exec_lo, s1
	v_mul_lo_u32 v0, v0, s21
	s_ashr_i32 s0, s3, 31
	v_add_co_u32 v13, s1, s3, v29
	s_delay_alu instid0(VALU_DEP_1) | instskip(SKIP_3) | instid1(VALU_DEP_4)
	v_add_co_ci_u32_e64 v14, null, s0, 0, s1
	v_and_b32_e32 v9, 0xffff0000, v2
	v_and_b32_e32 v10, 0xffff0000, v10
	v_ashrrev_i32_e32 v1, 31, v0
	v_lshlrev_b64 v[13:14], 1, v[13:14]
	s_mov_b32 s1, 0
	s_delay_alu instid0(VALU_DEP_2) | instskip(NEXT) | instid1(VALU_DEP_1)
	v_lshlrev_b64 v[0:1], 1, v[0:1]
	v_add_co_u32 v0, s0, s28, v0
	s_delay_alu instid0(VALU_DEP_1) | instskip(NEXT) | instid1(VALU_DEP_2)
	v_add_co_ci_u32_e64 v1, s0, s29, v1, s0
	v_add_co_u32 v0, s0, v0, v13
	s_delay_alu instid0(VALU_DEP_1)
	v_add_co_ci_u32_e64 v1, s0, v1, v14, s0
	global_load_b32 v3, v[0:1], off offset:32
	s_branch .LBB10_337
.LBB10_336:                             ;   in Loop: Header=BB10_337 Depth=1
	s_or_b32 exec_lo, exec_lo, s4
	v_lshrrev_b32_e32 v2, 16, v2
	s_delay_alu instid0(VALU_DEP_1) | instskip(SKIP_4) | instid1(VALU_DEP_2)
	v_and_or_b32 v2, 0xffff0000, v14, v2
	global_atomic_cmpswap_b32 v2, v[0:1], v[2:3], off offset:32 glc
	s_waitcnt vmcnt(0)
	v_cmp_eq_u32_e64 s0, v2, v3
	v_mov_b32_e32 v3, v2
	s_or_b32 s1, s0, s1
	s_delay_alu instid0(SALU_CYCLE_1)
	s_and_not1_b32 exec_lo, exec_lo, s1
	s_cbranch_execz .LBB10_345
.LBB10_337:                             ; =>This Inner Loop Header: Depth=1
	s_waitcnt vmcnt(0)
	v_lshlrev_b32_e32 v2, 16, v3
	s_delay_alu instid0(VALU_DEP_1) | instskip(NEXT) | instid1(VALU_DEP_1)
	v_add_f32_e32 v13, v9, v2
	v_and_b32_e32 v2, 0x7f800000, v13
	s_delay_alu instid0(VALU_DEP_1) | instskip(NEXT) | instid1(VALU_DEP_1)
	v_cmp_ne_u32_e64 s0, 0x7f800000, v2
                                        ; implicit-def: $vgpr2
	s_and_saveexec_b32 s4, s0
	s_delay_alu instid0(SALU_CYCLE_1)
	s_xor_b32 s0, exec_lo, s4
; %bb.338:                              ;   in Loop: Header=BB10_337 Depth=1
	v_bfe_u32 v2, v13, 16, 1
	s_delay_alu instid0(VALU_DEP_1)
	v_add3_u32 v2, v13, v2, 0x7fff
                                        ; implicit-def: $vgpr13
; %bb.339:                              ;   in Loop: Header=BB10_337 Depth=1
	s_and_not1_saveexec_b32 s4, s0
; %bb.340:                              ;   in Loop: Header=BB10_337 Depth=1
	v_and_b32_e32 v2, 0xffff, v13
	v_or_b32_e32 v14, 0x10000, v13
	s_delay_alu instid0(VALU_DEP_2) | instskip(NEXT) | instid1(VALU_DEP_1)
	v_cmp_eq_u32_e64 s0, 0, v2
	v_cndmask_b32_e64 v2, v14, v13, s0
; %bb.341:                              ;   in Loop: Header=BB10_337 Depth=1
	s_or_b32 exec_lo, exec_lo, s4
	v_and_b32_e32 v13, 0xffff0000, v3
	s_delay_alu instid0(VALU_DEP_1) | instskip(NEXT) | instid1(VALU_DEP_1)
	v_add_f32_e32 v13, v10, v13
	v_and_b32_e32 v14, 0x7f800000, v13
	s_delay_alu instid0(VALU_DEP_1) | instskip(NEXT) | instid1(VALU_DEP_1)
	v_cmp_ne_u32_e64 s0, 0x7f800000, v14
                                        ; implicit-def: $vgpr14
	s_and_saveexec_b32 s4, s0
	s_delay_alu instid0(SALU_CYCLE_1)
	s_xor_b32 s0, exec_lo, s4
; %bb.342:                              ;   in Loop: Header=BB10_337 Depth=1
	v_bfe_u32 v14, v13, 16, 1
	s_delay_alu instid0(VALU_DEP_1)
	v_add3_u32 v14, v13, v14, 0x7fff
                                        ; implicit-def: $vgpr13
; %bb.343:                              ;   in Loop: Header=BB10_337 Depth=1
	s_and_not1_saveexec_b32 s4, s0
	s_cbranch_execz .LBB10_336
; %bb.344:                              ;   in Loop: Header=BB10_337 Depth=1
	v_and_b32_e32 v14, 0xffff, v13
	v_or_b32_e32 v15, 0x10000, v13
	s_delay_alu instid0(VALU_DEP_2) | instskip(NEXT) | instid1(VALU_DEP_1)
	v_cmp_eq_u32_e64 s0, 0, v14
	v_cndmask_b32_e64 v14, v15, v13, s0
	s_branch .LBB10_336
.LBB10_345:
	s_or_b32 exec_lo, exec_lo, s2
	s_waitcnt lgkmcnt(0)
	ds_bpermute_b32 v1, v12, v4
	s_and_saveexec_b32 s2, vcc_lo
	s_cbranch_execz .LBB10_365
; %bb.346:
	v_or3_b32 v0, v30, v23, 6
	v_cmp_gt_i32_e64 s1, s21, v11
	s_delay_alu instid0(VALU_DEP_2) | instskip(NEXT) | instid1(VALU_DEP_1)
	v_cmp_gt_i32_e64 s0, s20, v0
	s_and_b32 s0, s0, s1
	s_delay_alu instid0(SALU_CYCLE_1)
	s_and_b32 exec_lo, exec_lo, s0
	s_cbranch_execz .LBB10_365
; %bb.347:
	v_and_b32_e32 v2, 0x7f800000, v4
	s_delay_alu instid0(VALU_DEP_1) | instskip(NEXT) | instid1(VALU_DEP_1)
	v_cmp_ne_u32_e64 s0, 0x7f800000, v2
                                        ; implicit-def: $vgpr2
	s_and_saveexec_b32 s1, s0
	s_delay_alu instid0(SALU_CYCLE_1)
	s_xor_b32 s0, exec_lo, s1
; %bb.348:
	v_bfe_u32 v2, v4, 16, 1
	s_delay_alu instid0(VALU_DEP_1)
	v_add3_u32 v2, v4, v2, 0x7fff
; %bb.349:
	s_and_not1_saveexec_b32 s1, s0
; %bb.350:
	v_and_b32_e32 v2, 0xffff, v4
	v_or_b32_e32 v3, 0x10000, v4
	s_delay_alu instid0(VALU_DEP_2) | instskip(NEXT) | instid1(VALU_DEP_1)
	v_cmp_eq_u32_e64 s0, 0, v2
	v_cndmask_b32_e64 v2, v3, v4, s0
; %bb.351:
	s_or_b32 exec_lo, exec_lo, s1
	s_waitcnt lgkmcnt(0)
	v_and_b32_e32 v3, 0x7f800000, v1
                                        ; implicit-def: $vgpr9
	s_delay_alu instid0(VALU_DEP_1) | instskip(NEXT) | instid1(VALU_DEP_1)
	v_cmp_ne_u32_e64 s0, 0x7f800000, v3
	s_and_saveexec_b32 s1, s0
	s_delay_alu instid0(SALU_CYCLE_1)
	s_xor_b32 s0, exec_lo, s1
; %bb.352:
	v_bfe_u32 v3, v1, 16, 1
	s_delay_alu instid0(VALU_DEP_1)
	v_add3_u32 v9, v1, v3, 0x7fff
                                        ; implicit-def: $vgpr1
; %bb.353:
	s_and_not1_saveexec_b32 s1, s0
; %bb.354:
	v_and_b32_e32 v3, 0xffff, v1
	v_or_b32_e32 v4, 0x10000, v1
	s_delay_alu instid0(VALU_DEP_2) | instskip(NEXT) | instid1(VALU_DEP_1)
	v_cmp_eq_u32_e64 s0, 0, v3
	v_cndmask_b32_e64 v9, v4, v1, s0
; %bb.355:
	s_or_b32 exec_lo, exec_lo, s1
	v_mul_lo_u32 v0, v0, s21
	s_ashr_i32 s0, s3, 31
	v_add_co_u32 v3, s1, s3, v29
	s_delay_alu instid0(VALU_DEP_1) | instskip(SKIP_2) | instid1(VALU_DEP_4)
	v_add_co_ci_u32_e64 v4, null, s0, 0, s1
	v_and_b32_e32 v9, 0xffff0000, v9
	s_mov_b32 s1, 0
	v_ashrrev_i32_e32 v1, 31, v0
	s_delay_alu instid0(VALU_DEP_3) | instskip(NEXT) | instid1(VALU_DEP_2)
	v_lshlrev_b64 v[3:4], 1, v[3:4]
	v_lshlrev_b64 v[0:1], 1, v[0:1]
	s_delay_alu instid0(VALU_DEP_1) | instskip(NEXT) | instid1(VALU_DEP_1)
	v_add_co_u32 v0, s0, s28, v0
	v_add_co_ci_u32_e64 v1, s0, s29, v1, s0
	s_delay_alu instid0(VALU_DEP_2) | instskip(NEXT) | instid1(VALU_DEP_1)
	v_add_co_u32 v0, s0, v0, v3
	v_add_co_ci_u32_e64 v1, s0, v1, v4, s0
	v_and_b32_e32 v4, 0xffff0000, v2
	global_load_b32 v3, v[0:1], off offset:32
	s_branch .LBB10_357
.LBB10_356:                             ;   in Loop: Header=BB10_357 Depth=1
	s_or_b32 exec_lo, exec_lo, s4
	v_lshrrev_b32_e32 v2, 16, v2
	s_delay_alu instid0(VALU_DEP_1) | instskip(SKIP_4) | instid1(VALU_DEP_2)
	v_and_or_b32 v2, 0xffff0000, v13, v2
	global_atomic_cmpswap_b32 v2, v[0:1], v[2:3], off offset:32 glc
	s_waitcnt vmcnt(0)
	v_cmp_eq_u32_e64 s0, v2, v3
	v_mov_b32_e32 v3, v2
	s_or_b32 s1, s0, s1
	s_delay_alu instid0(SALU_CYCLE_1)
	s_and_not1_b32 exec_lo, exec_lo, s1
	s_cbranch_execz .LBB10_365
.LBB10_357:                             ; =>This Inner Loop Header: Depth=1
	s_waitcnt vmcnt(0)
	v_lshlrev_b32_e32 v2, 16, v3
	s_delay_alu instid0(VALU_DEP_1) | instskip(NEXT) | instid1(VALU_DEP_1)
	v_add_f32_e32 v10, v4, v2
	v_and_b32_e32 v2, 0x7f800000, v10
	s_delay_alu instid0(VALU_DEP_1) | instskip(NEXT) | instid1(VALU_DEP_1)
	v_cmp_ne_u32_e64 s0, 0x7f800000, v2
                                        ; implicit-def: $vgpr2
	s_and_saveexec_b32 s4, s0
	s_delay_alu instid0(SALU_CYCLE_1)
	s_xor_b32 s0, exec_lo, s4
; %bb.358:                              ;   in Loop: Header=BB10_357 Depth=1
	v_bfe_u32 v2, v10, 16, 1
	s_delay_alu instid0(VALU_DEP_1)
	v_add3_u32 v2, v10, v2, 0x7fff
                                        ; implicit-def: $vgpr10
; %bb.359:                              ;   in Loop: Header=BB10_357 Depth=1
	s_and_not1_saveexec_b32 s4, s0
; %bb.360:                              ;   in Loop: Header=BB10_357 Depth=1
	v_and_b32_e32 v2, 0xffff, v10
	v_or_b32_e32 v13, 0x10000, v10
	s_delay_alu instid0(VALU_DEP_2) | instskip(NEXT) | instid1(VALU_DEP_1)
	v_cmp_eq_u32_e64 s0, 0, v2
	v_cndmask_b32_e64 v2, v13, v10, s0
; %bb.361:                              ;   in Loop: Header=BB10_357 Depth=1
	s_or_b32 exec_lo, exec_lo, s4
	v_and_b32_e32 v10, 0xffff0000, v3
	s_delay_alu instid0(VALU_DEP_1) | instskip(NEXT) | instid1(VALU_DEP_1)
	v_add_f32_e32 v10, v9, v10
	v_and_b32_e32 v13, 0x7f800000, v10
	s_delay_alu instid0(VALU_DEP_1) | instskip(NEXT) | instid1(VALU_DEP_1)
	v_cmp_ne_u32_e64 s0, 0x7f800000, v13
                                        ; implicit-def: $vgpr13
	s_and_saveexec_b32 s4, s0
	s_delay_alu instid0(SALU_CYCLE_1)
	s_xor_b32 s0, exec_lo, s4
; %bb.362:                              ;   in Loop: Header=BB10_357 Depth=1
	v_bfe_u32 v13, v10, 16, 1
	s_delay_alu instid0(VALU_DEP_1)
	v_add3_u32 v13, v10, v13, 0x7fff
                                        ; implicit-def: $vgpr10
; %bb.363:                              ;   in Loop: Header=BB10_357 Depth=1
	s_and_not1_saveexec_b32 s4, s0
	s_cbranch_execz .LBB10_356
; %bb.364:                              ;   in Loop: Header=BB10_357 Depth=1
	v_and_b32_e32 v13, 0xffff, v10
	v_or_b32_e32 v14, 0x10000, v10
	s_delay_alu instid0(VALU_DEP_2) | instskip(NEXT) | instid1(VALU_DEP_1)
	v_cmp_eq_u32_e64 s0, 0, v13
	v_cndmask_b32_e64 v13, v14, v10, s0
	s_branch .LBB10_356
.LBB10_365:
	s_or_b32 exec_lo, exec_lo, s2
	s_waitcnt lgkmcnt(0)
	ds_bpermute_b32 v1, v12, v5
	s_and_saveexec_b32 s2, vcc_lo
	s_cbranch_execz .LBB10_385
; %bb.366:
	v_or3_b32 v0, v30, v23, 8
	v_cmp_gt_i32_e64 s1, s21, v11
	s_delay_alu instid0(VALU_DEP_2) | instskip(NEXT) | instid1(VALU_DEP_1)
	v_cmp_gt_i32_e64 s0, s20, v0
	s_and_b32 s0, s0, s1
	s_delay_alu instid0(SALU_CYCLE_1)
	s_and_b32 exec_lo, exec_lo, s0
	s_cbranch_execz .LBB10_385
; %bb.367:
	v_and_b32_e32 v2, 0x7f800000, v5
	s_delay_alu instid0(VALU_DEP_1) | instskip(NEXT) | instid1(VALU_DEP_1)
	v_cmp_ne_u32_e64 s0, 0x7f800000, v2
                                        ; implicit-def: $vgpr2
	s_and_saveexec_b32 s1, s0
	s_delay_alu instid0(SALU_CYCLE_1)
	s_xor_b32 s0, exec_lo, s1
; %bb.368:
	v_bfe_u32 v2, v5, 16, 1
	s_delay_alu instid0(VALU_DEP_1)
	v_add3_u32 v2, v5, v2, 0x7fff
; %bb.369:
	s_and_not1_saveexec_b32 s1, s0
; %bb.370:
	v_and_b32_e32 v2, 0xffff, v5
	v_or_b32_e32 v3, 0x10000, v5
	s_delay_alu instid0(VALU_DEP_2) | instskip(NEXT) | instid1(VALU_DEP_1)
	v_cmp_eq_u32_e64 s0, 0, v2
	v_cndmask_b32_e64 v2, v3, v5, s0
; %bb.371:
	s_or_b32 exec_lo, exec_lo, s1
	s_waitcnt lgkmcnt(0)
	v_and_b32_e32 v3, 0x7f800000, v1
                                        ; implicit-def: $vgpr5
	s_delay_alu instid0(VALU_DEP_1) | instskip(NEXT) | instid1(VALU_DEP_1)
	v_cmp_ne_u32_e64 s0, 0x7f800000, v3
	s_and_saveexec_b32 s1, s0
	s_delay_alu instid0(SALU_CYCLE_1)
	s_xor_b32 s0, exec_lo, s1
; %bb.372:
	v_bfe_u32 v3, v1, 16, 1
	s_delay_alu instid0(VALU_DEP_1)
	v_add3_u32 v5, v1, v3, 0x7fff
                                        ; implicit-def: $vgpr1
; %bb.373:
	s_and_not1_saveexec_b32 s1, s0
; %bb.374:
	v_and_b32_e32 v3, 0xffff, v1
	v_or_b32_e32 v4, 0x10000, v1
	s_delay_alu instid0(VALU_DEP_2) | instskip(NEXT) | instid1(VALU_DEP_1)
	v_cmp_eq_u32_e64 s0, 0, v3
	v_cndmask_b32_e64 v5, v4, v1, s0
; %bb.375:
	s_or_b32 exec_lo, exec_lo, s1
	v_mul_lo_u32 v0, v0, s21
	s_ashr_i32 s0, s3, 31
	v_add_co_u32 v3, s1, s3, v29
	s_delay_alu instid0(VALU_DEP_1) | instskip(SKIP_2) | instid1(VALU_DEP_4)
	v_add_co_ci_u32_e64 v4, null, s0, 0, s1
	v_and_b32_e32 v5, 0xffff0000, v5
	s_mov_b32 s1, 0
	v_ashrrev_i32_e32 v1, 31, v0
	s_delay_alu instid0(VALU_DEP_3) | instskip(NEXT) | instid1(VALU_DEP_2)
	v_lshlrev_b64 v[3:4], 1, v[3:4]
	v_lshlrev_b64 v[0:1], 1, v[0:1]
	s_delay_alu instid0(VALU_DEP_1) | instskip(NEXT) | instid1(VALU_DEP_1)
	v_add_co_u32 v0, s0, s28, v0
	v_add_co_ci_u32_e64 v1, s0, s29, v1, s0
	s_delay_alu instid0(VALU_DEP_2) | instskip(NEXT) | instid1(VALU_DEP_1)
	v_add_co_u32 v0, s0, v0, v3
	v_add_co_ci_u32_e64 v1, s0, v1, v4, s0
	v_and_b32_e32 v4, 0xffff0000, v2
	global_load_b32 v3, v[0:1], off offset:32
	s_branch .LBB10_377
.LBB10_376:                             ;   in Loop: Header=BB10_377 Depth=1
	s_or_b32 exec_lo, exec_lo, s4
	v_lshrrev_b32_e32 v2, 16, v2
	s_delay_alu instid0(VALU_DEP_1) | instskip(SKIP_4) | instid1(VALU_DEP_2)
	v_and_or_b32 v2, 0xffff0000, v10, v2
	global_atomic_cmpswap_b32 v2, v[0:1], v[2:3], off offset:32 glc
	s_waitcnt vmcnt(0)
	v_cmp_eq_u32_e64 s0, v2, v3
	v_mov_b32_e32 v3, v2
	s_or_b32 s1, s0, s1
	s_delay_alu instid0(SALU_CYCLE_1)
	s_and_not1_b32 exec_lo, exec_lo, s1
	s_cbranch_execz .LBB10_385
.LBB10_377:                             ; =>This Inner Loop Header: Depth=1
	s_waitcnt vmcnt(0)
	v_lshlrev_b32_e32 v2, 16, v3
	s_delay_alu instid0(VALU_DEP_1) | instskip(NEXT) | instid1(VALU_DEP_1)
	v_add_f32_e32 v9, v4, v2
	v_and_b32_e32 v2, 0x7f800000, v9
	s_delay_alu instid0(VALU_DEP_1) | instskip(NEXT) | instid1(VALU_DEP_1)
	v_cmp_ne_u32_e64 s0, 0x7f800000, v2
                                        ; implicit-def: $vgpr2
	s_and_saveexec_b32 s4, s0
	s_delay_alu instid0(SALU_CYCLE_1)
	s_xor_b32 s0, exec_lo, s4
; %bb.378:                              ;   in Loop: Header=BB10_377 Depth=1
	v_bfe_u32 v2, v9, 16, 1
	s_delay_alu instid0(VALU_DEP_1)
	v_add3_u32 v2, v9, v2, 0x7fff
                                        ; implicit-def: $vgpr9
; %bb.379:                              ;   in Loop: Header=BB10_377 Depth=1
	s_and_not1_saveexec_b32 s4, s0
; %bb.380:                              ;   in Loop: Header=BB10_377 Depth=1
	v_and_b32_e32 v2, 0xffff, v9
	v_or_b32_e32 v10, 0x10000, v9
	s_delay_alu instid0(VALU_DEP_2) | instskip(NEXT) | instid1(VALU_DEP_1)
	v_cmp_eq_u32_e64 s0, 0, v2
	v_cndmask_b32_e64 v2, v10, v9, s0
; %bb.381:                              ;   in Loop: Header=BB10_377 Depth=1
	s_or_b32 exec_lo, exec_lo, s4
	v_and_b32_e32 v9, 0xffff0000, v3
	s_delay_alu instid0(VALU_DEP_1) | instskip(NEXT) | instid1(VALU_DEP_1)
	v_add_f32_e32 v9, v5, v9
	v_and_b32_e32 v10, 0x7f800000, v9
	s_delay_alu instid0(VALU_DEP_1) | instskip(NEXT) | instid1(VALU_DEP_1)
	v_cmp_ne_u32_e64 s0, 0x7f800000, v10
                                        ; implicit-def: $vgpr10
	s_and_saveexec_b32 s4, s0
	s_delay_alu instid0(SALU_CYCLE_1)
	s_xor_b32 s0, exec_lo, s4
; %bb.382:                              ;   in Loop: Header=BB10_377 Depth=1
	v_bfe_u32 v10, v9, 16, 1
	s_delay_alu instid0(VALU_DEP_1)
	v_add3_u32 v10, v9, v10, 0x7fff
                                        ; implicit-def: $vgpr9
; %bb.383:                              ;   in Loop: Header=BB10_377 Depth=1
	s_and_not1_saveexec_b32 s4, s0
	s_cbranch_execz .LBB10_376
; %bb.384:                              ;   in Loop: Header=BB10_377 Depth=1
	v_and_b32_e32 v10, 0xffff, v9
	v_or_b32_e32 v13, 0x10000, v9
	s_delay_alu instid0(VALU_DEP_2) | instskip(NEXT) | instid1(VALU_DEP_1)
	v_cmp_eq_u32_e64 s0, 0, v10
	v_cndmask_b32_e64 v10, v13, v9, s0
	s_branch .LBB10_376
.LBB10_385:
	s_or_b32 exec_lo, exec_lo, s2
	s_waitcnt lgkmcnt(0)
	ds_bpermute_b32 v1, v12, v6
	s_and_saveexec_b32 s2, vcc_lo
	s_cbranch_execz .LBB10_405
; %bb.386:
	v_or3_b32 v0, v30, v23, 10
	v_cmp_gt_i32_e64 s1, s21, v11
	s_delay_alu instid0(VALU_DEP_2) | instskip(NEXT) | instid1(VALU_DEP_1)
	v_cmp_gt_i32_e64 s0, s20, v0
	s_and_b32 s0, s0, s1
	s_delay_alu instid0(SALU_CYCLE_1)
	s_and_b32 exec_lo, exec_lo, s0
	s_cbranch_execz .LBB10_405
; %bb.387:
	v_and_b32_e32 v2, 0x7f800000, v6
	s_delay_alu instid0(VALU_DEP_1) | instskip(NEXT) | instid1(VALU_DEP_1)
	v_cmp_ne_u32_e64 s0, 0x7f800000, v2
                                        ; implicit-def: $vgpr2
	s_and_saveexec_b32 s1, s0
	s_delay_alu instid0(SALU_CYCLE_1)
	s_xor_b32 s0, exec_lo, s1
; %bb.388:
	v_bfe_u32 v2, v6, 16, 1
	s_delay_alu instid0(VALU_DEP_1)
	v_add3_u32 v2, v6, v2, 0x7fff
; %bb.389:
	s_and_not1_saveexec_b32 s1, s0
; %bb.390:
	v_and_b32_e32 v2, 0xffff, v6
	v_or_b32_e32 v3, 0x10000, v6
	s_delay_alu instid0(VALU_DEP_2) | instskip(NEXT) | instid1(VALU_DEP_1)
	v_cmp_eq_u32_e64 s0, 0, v2
	v_cndmask_b32_e64 v2, v3, v6, s0
; %bb.391:
	s_or_b32 exec_lo, exec_lo, s1
	s_waitcnt lgkmcnt(0)
	v_and_b32_e32 v3, 0x7f800000, v1
                                        ; implicit-def: $vgpr5
	s_delay_alu instid0(VALU_DEP_1) | instskip(NEXT) | instid1(VALU_DEP_1)
	v_cmp_ne_u32_e64 s0, 0x7f800000, v3
	s_and_saveexec_b32 s1, s0
	s_delay_alu instid0(SALU_CYCLE_1)
	s_xor_b32 s0, exec_lo, s1
; %bb.392:
	v_bfe_u32 v3, v1, 16, 1
	s_delay_alu instid0(VALU_DEP_1)
	v_add3_u32 v5, v1, v3, 0x7fff
                                        ; implicit-def: $vgpr1
; %bb.393:
	s_and_not1_saveexec_b32 s1, s0
; %bb.394:
	v_and_b32_e32 v3, 0xffff, v1
	v_or_b32_e32 v4, 0x10000, v1
	s_delay_alu instid0(VALU_DEP_2) | instskip(NEXT) | instid1(VALU_DEP_1)
	v_cmp_eq_u32_e64 s0, 0, v3
	v_cndmask_b32_e64 v5, v4, v1, s0
; %bb.395:
	s_or_b32 exec_lo, exec_lo, s1
	v_mul_lo_u32 v0, v0, s21
	s_ashr_i32 s0, s3, 31
	v_add_co_u32 v3, s1, s3, v29
	s_delay_alu instid0(VALU_DEP_1) | instskip(SKIP_2) | instid1(VALU_DEP_4)
	v_add_co_ci_u32_e64 v4, null, s0, 0, s1
	v_and_b32_e32 v5, 0xffff0000, v5
	s_mov_b32 s1, 0
	v_ashrrev_i32_e32 v1, 31, v0
	s_delay_alu instid0(VALU_DEP_3) | instskip(NEXT) | instid1(VALU_DEP_2)
	v_lshlrev_b64 v[3:4], 1, v[3:4]
	v_lshlrev_b64 v[0:1], 1, v[0:1]
	s_delay_alu instid0(VALU_DEP_1) | instskip(NEXT) | instid1(VALU_DEP_1)
	v_add_co_u32 v0, s0, s28, v0
	v_add_co_ci_u32_e64 v1, s0, s29, v1, s0
	s_delay_alu instid0(VALU_DEP_2) | instskip(NEXT) | instid1(VALU_DEP_1)
	v_add_co_u32 v0, s0, v0, v3
	v_add_co_ci_u32_e64 v1, s0, v1, v4, s0
	v_and_b32_e32 v4, 0xffff0000, v2
	global_load_b32 v3, v[0:1], off offset:32
	s_branch .LBB10_397
.LBB10_396:                             ;   in Loop: Header=BB10_397 Depth=1
	s_or_b32 exec_lo, exec_lo, s4
	v_lshrrev_b32_e32 v2, 16, v2
	s_delay_alu instid0(VALU_DEP_1) | instskip(SKIP_4) | instid1(VALU_DEP_2)
	v_and_or_b32 v2, 0xffff0000, v9, v2
	global_atomic_cmpswap_b32 v2, v[0:1], v[2:3], off offset:32 glc
	s_waitcnt vmcnt(0)
	v_cmp_eq_u32_e64 s0, v2, v3
	v_mov_b32_e32 v3, v2
	s_or_b32 s1, s0, s1
	s_delay_alu instid0(SALU_CYCLE_1)
	s_and_not1_b32 exec_lo, exec_lo, s1
	s_cbranch_execz .LBB10_405
.LBB10_397:                             ; =>This Inner Loop Header: Depth=1
	s_waitcnt vmcnt(0)
	v_lshlrev_b32_e32 v2, 16, v3
	s_delay_alu instid0(VALU_DEP_1) | instskip(NEXT) | instid1(VALU_DEP_1)
	v_add_f32_e32 v6, v4, v2
	v_and_b32_e32 v2, 0x7f800000, v6
	s_delay_alu instid0(VALU_DEP_1) | instskip(NEXT) | instid1(VALU_DEP_1)
	v_cmp_ne_u32_e64 s0, 0x7f800000, v2
                                        ; implicit-def: $vgpr2
	s_and_saveexec_b32 s4, s0
	s_delay_alu instid0(SALU_CYCLE_1)
	s_xor_b32 s0, exec_lo, s4
; %bb.398:                              ;   in Loop: Header=BB10_397 Depth=1
	v_bfe_u32 v2, v6, 16, 1
	s_delay_alu instid0(VALU_DEP_1)
	v_add3_u32 v2, v6, v2, 0x7fff
                                        ; implicit-def: $vgpr6
; %bb.399:                              ;   in Loop: Header=BB10_397 Depth=1
	s_and_not1_saveexec_b32 s4, s0
; %bb.400:                              ;   in Loop: Header=BB10_397 Depth=1
	v_and_b32_e32 v2, 0xffff, v6
	v_or_b32_e32 v9, 0x10000, v6
	s_delay_alu instid0(VALU_DEP_2) | instskip(NEXT) | instid1(VALU_DEP_1)
	v_cmp_eq_u32_e64 s0, 0, v2
	v_cndmask_b32_e64 v2, v9, v6, s0
; %bb.401:                              ;   in Loop: Header=BB10_397 Depth=1
	s_or_b32 exec_lo, exec_lo, s4
	v_and_b32_e32 v6, 0xffff0000, v3
	s_delay_alu instid0(VALU_DEP_1) | instskip(NEXT) | instid1(VALU_DEP_1)
	v_add_f32_e32 v6, v5, v6
	v_and_b32_e32 v9, 0x7f800000, v6
	s_delay_alu instid0(VALU_DEP_1) | instskip(NEXT) | instid1(VALU_DEP_1)
	v_cmp_ne_u32_e64 s0, 0x7f800000, v9
                                        ; implicit-def: $vgpr9
	s_and_saveexec_b32 s4, s0
	s_delay_alu instid0(SALU_CYCLE_1)
	s_xor_b32 s0, exec_lo, s4
; %bb.402:                              ;   in Loop: Header=BB10_397 Depth=1
	v_bfe_u32 v9, v6, 16, 1
	s_delay_alu instid0(VALU_DEP_1)
	v_add3_u32 v9, v6, v9, 0x7fff
                                        ; implicit-def: $vgpr6
; %bb.403:                              ;   in Loop: Header=BB10_397 Depth=1
	s_and_not1_saveexec_b32 s4, s0
	s_cbranch_execz .LBB10_396
; %bb.404:                              ;   in Loop: Header=BB10_397 Depth=1
	v_and_b32_e32 v9, 0xffff, v6
	v_or_b32_e32 v10, 0x10000, v6
	s_delay_alu instid0(VALU_DEP_2) | instskip(NEXT) | instid1(VALU_DEP_1)
	v_cmp_eq_u32_e64 s0, 0, v9
	v_cndmask_b32_e64 v9, v10, v6, s0
	s_branch .LBB10_396
.LBB10_405:
	s_or_b32 exec_lo, exec_lo, s2
	s_waitcnt lgkmcnt(0)
	ds_bpermute_b32 v1, v12, v7
	s_and_saveexec_b32 s2, vcc_lo
	s_cbranch_execz .LBB10_425
; %bb.406:
	v_or3_b32 v0, v30, v23, 12
	v_cmp_gt_i32_e64 s1, s21, v11
	s_delay_alu instid0(VALU_DEP_2) | instskip(NEXT) | instid1(VALU_DEP_1)
	v_cmp_gt_i32_e64 s0, s20, v0
	s_and_b32 s0, s0, s1
	s_delay_alu instid0(SALU_CYCLE_1)
	s_and_b32 exec_lo, exec_lo, s0
	s_cbranch_execz .LBB10_425
; %bb.407:
	v_and_b32_e32 v2, 0x7f800000, v7
	s_delay_alu instid0(VALU_DEP_1) | instskip(NEXT) | instid1(VALU_DEP_1)
	v_cmp_ne_u32_e64 s0, 0x7f800000, v2
                                        ; implicit-def: $vgpr2
	s_and_saveexec_b32 s1, s0
	s_delay_alu instid0(SALU_CYCLE_1)
	s_xor_b32 s0, exec_lo, s1
; %bb.408:
	v_bfe_u32 v2, v7, 16, 1
	s_delay_alu instid0(VALU_DEP_1)
	v_add3_u32 v2, v7, v2, 0x7fff
; %bb.409:
	s_and_not1_saveexec_b32 s1, s0
; %bb.410:
	v_and_b32_e32 v2, 0xffff, v7
	v_or_b32_e32 v3, 0x10000, v7
	s_delay_alu instid0(VALU_DEP_2) | instskip(NEXT) | instid1(VALU_DEP_1)
	v_cmp_eq_u32_e64 s0, 0, v2
	v_cndmask_b32_e64 v2, v3, v7, s0
; %bb.411:
	s_or_b32 exec_lo, exec_lo, s1
	s_waitcnt lgkmcnt(0)
	v_and_b32_e32 v3, 0x7f800000, v1
                                        ; implicit-def: $vgpr5
	s_delay_alu instid0(VALU_DEP_1) | instskip(NEXT) | instid1(VALU_DEP_1)
	v_cmp_ne_u32_e64 s0, 0x7f800000, v3
	s_and_saveexec_b32 s1, s0
	s_delay_alu instid0(SALU_CYCLE_1)
	s_xor_b32 s0, exec_lo, s1
; %bb.412:
	v_bfe_u32 v3, v1, 16, 1
	s_delay_alu instid0(VALU_DEP_1)
	v_add3_u32 v5, v1, v3, 0x7fff
                                        ; implicit-def: $vgpr1
; %bb.413:
	s_and_not1_saveexec_b32 s1, s0
; %bb.414:
	v_and_b32_e32 v3, 0xffff, v1
	v_or_b32_e32 v4, 0x10000, v1
	s_delay_alu instid0(VALU_DEP_2) | instskip(NEXT) | instid1(VALU_DEP_1)
	v_cmp_eq_u32_e64 s0, 0, v3
	v_cndmask_b32_e64 v5, v4, v1, s0
; %bb.415:
	s_or_b32 exec_lo, exec_lo, s1
	v_mul_lo_u32 v0, v0, s21
	s_ashr_i32 s0, s3, 31
	v_add_co_u32 v3, s1, s3, v29
	s_delay_alu instid0(VALU_DEP_1) | instskip(SKIP_2) | instid1(VALU_DEP_4)
	v_add_co_ci_u32_e64 v4, null, s0, 0, s1
	v_and_b32_e32 v5, 0xffff0000, v5
	s_mov_b32 s1, 0
	v_ashrrev_i32_e32 v1, 31, v0
	s_delay_alu instid0(VALU_DEP_3) | instskip(NEXT) | instid1(VALU_DEP_2)
	v_lshlrev_b64 v[3:4], 1, v[3:4]
	v_lshlrev_b64 v[0:1], 1, v[0:1]
	s_delay_alu instid0(VALU_DEP_1) | instskip(NEXT) | instid1(VALU_DEP_1)
	v_add_co_u32 v0, s0, s28, v0
	v_add_co_ci_u32_e64 v1, s0, s29, v1, s0
	s_delay_alu instid0(VALU_DEP_2) | instskip(NEXT) | instid1(VALU_DEP_1)
	v_add_co_u32 v0, s0, v0, v3
	v_add_co_ci_u32_e64 v1, s0, v1, v4, s0
	v_and_b32_e32 v4, 0xffff0000, v2
	global_load_b32 v3, v[0:1], off offset:32
	s_branch .LBB10_417
.LBB10_416:                             ;   in Loop: Header=BB10_417 Depth=1
	s_or_b32 exec_lo, exec_lo, s4
	v_lshrrev_b32_e32 v2, 16, v2
	s_delay_alu instid0(VALU_DEP_1) | instskip(SKIP_4) | instid1(VALU_DEP_2)
	v_and_or_b32 v2, 0xffff0000, v7, v2
	global_atomic_cmpswap_b32 v2, v[0:1], v[2:3], off offset:32 glc
	s_waitcnt vmcnt(0)
	v_cmp_eq_u32_e64 s0, v2, v3
	v_mov_b32_e32 v3, v2
	s_or_b32 s1, s0, s1
	s_delay_alu instid0(SALU_CYCLE_1)
	s_and_not1_b32 exec_lo, exec_lo, s1
	s_cbranch_execz .LBB10_425
.LBB10_417:                             ; =>This Inner Loop Header: Depth=1
	s_waitcnt vmcnt(0)
	v_lshlrev_b32_e32 v2, 16, v3
	s_delay_alu instid0(VALU_DEP_1) | instskip(NEXT) | instid1(VALU_DEP_1)
	v_add_f32_e32 v6, v4, v2
	v_and_b32_e32 v2, 0x7f800000, v6
	s_delay_alu instid0(VALU_DEP_1) | instskip(NEXT) | instid1(VALU_DEP_1)
	v_cmp_ne_u32_e64 s0, 0x7f800000, v2
                                        ; implicit-def: $vgpr2
	s_and_saveexec_b32 s4, s0
	s_delay_alu instid0(SALU_CYCLE_1)
	s_xor_b32 s0, exec_lo, s4
; %bb.418:                              ;   in Loop: Header=BB10_417 Depth=1
	v_bfe_u32 v2, v6, 16, 1
	s_delay_alu instid0(VALU_DEP_1)
	v_add3_u32 v2, v6, v2, 0x7fff
                                        ; implicit-def: $vgpr6
; %bb.419:                              ;   in Loop: Header=BB10_417 Depth=1
	s_and_not1_saveexec_b32 s4, s0
; %bb.420:                              ;   in Loop: Header=BB10_417 Depth=1
	v_and_b32_e32 v2, 0xffff, v6
	v_or_b32_e32 v7, 0x10000, v6
	s_delay_alu instid0(VALU_DEP_2) | instskip(NEXT) | instid1(VALU_DEP_1)
	v_cmp_eq_u32_e64 s0, 0, v2
	v_cndmask_b32_e64 v2, v7, v6, s0
; %bb.421:                              ;   in Loop: Header=BB10_417 Depth=1
	s_or_b32 exec_lo, exec_lo, s4
	v_and_b32_e32 v6, 0xffff0000, v3
	s_delay_alu instid0(VALU_DEP_1) | instskip(NEXT) | instid1(VALU_DEP_1)
	v_add_f32_e32 v6, v5, v6
	v_and_b32_e32 v7, 0x7f800000, v6
	s_delay_alu instid0(VALU_DEP_1) | instskip(NEXT) | instid1(VALU_DEP_1)
	v_cmp_ne_u32_e64 s0, 0x7f800000, v7
                                        ; implicit-def: $vgpr7
	s_and_saveexec_b32 s4, s0
	s_delay_alu instid0(SALU_CYCLE_1)
	s_xor_b32 s0, exec_lo, s4
; %bb.422:                              ;   in Loop: Header=BB10_417 Depth=1
	v_bfe_u32 v7, v6, 16, 1
	s_delay_alu instid0(VALU_DEP_1)
	v_add3_u32 v7, v6, v7, 0x7fff
                                        ; implicit-def: $vgpr6
; %bb.423:                              ;   in Loop: Header=BB10_417 Depth=1
	s_and_not1_saveexec_b32 s4, s0
	s_cbranch_execz .LBB10_416
; %bb.424:                              ;   in Loop: Header=BB10_417 Depth=1
	v_and_b32_e32 v7, 0xffff, v6
	v_or_b32_e32 v9, 0x10000, v6
	s_delay_alu instid0(VALU_DEP_2) | instskip(NEXT) | instid1(VALU_DEP_1)
	v_cmp_eq_u32_e64 s0, 0, v7
	v_cndmask_b32_e64 v7, v9, v6, s0
	s_branch .LBB10_416
.LBB10_425:
	s_or_b32 exec_lo, exec_lo, s2
	ds_bpermute_b32 v10, v12, v8
	s_and_saveexec_b32 s0, vcc_lo
	s_cbranch_execz .LBB10_445
; %bb.426:
	v_or3_b32 v0, v30, v23, 14
	v_cmp_gt_i32_e64 s0, s21, v11
	s_delay_alu instid0(VALU_DEP_2) | instskip(NEXT) | instid1(VALU_DEP_2)
	v_cmp_gt_i32_e32 vcc_lo, s20, v0
	s_and_b32 s0, vcc_lo, s0
	s_delay_alu instid0(SALU_CYCLE_1)
	s_and_b32 exec_lo, exec_lo, s0
	s_cbranch_execz .LBB10_445
; %bb.427:
	s_waitcnt lgkmcnt(1)
	v_and_b32_e32 v1, 0x7f800000, v8
	s_mov_b32 s0, exec_lo
                                        ; implicit-def: $vgpr9
	s_delay_alu instid0(VALU_DEP_1)
	v_cmpx_ne_u32_e32 0x7f800000, v1
	s_xor_b32 s0, exec_lo, s0
; %bb.428:
	v_bfe_u32 v1, v8, 16, 1
	s_delay_alu instid0(VALU_DEP_1)
	v_add3_u32 v9, v8, v1, 0x7fff
                                        ; implicit-def: $vgpr1_vgpr2_vgpr3_vgpr4_vgpr5_vgpr6_vgpr7_vgpr8
; %bb.429:
	s_and_not1_saveexec_b32 s0, s0
; %bb.430:
	v_and_b32_e32 v1, 0xffff, v8
	v_or_b32_e32 v2, 0x10000, v8
	s_delay_alu instid0(VALU_DEP_2) | instskip(NEXT) | instid1(VALU_DEP_2)
	v_cmp_eq_u32_e32 vcc_lo, 0, v1
	v_cndmask_b32_e32 v9, v2, v8, vcc_lo
; %bb.431:
	s_or_b32 exec_lo, exec_lo, s0
	s_waitcnt lgkmcnt(0)
	v_and_b32_e32 v1, 0x7f800000, v10
	s_mov_b32 s0, exec_lo
                                        ; implicit-def: $vgpr2
	s_delay_alu instid0(VALU_DEP_1)
	v_cmpx_ne_u32_e32 0x7f800000, v1
	s_xor_b32 s0, exec_lo, s0
; %bb.432:
	v_bfe_u32 v1, v10, 16, 1
	s_delay_alu instid0(VALU_DEP_1)
	v_add3_u32 v2, v10, v1, 0x7fff
                                        ; implicit-def: $vgpr10
; %bb.433:
	s_and_not1_saveexec_b32 s0, s0
; %bb.434:
	v_and_b32_e32 v1, 0xffff, v10
	v_or_b32_e32 v2, 0x10000, v10
	s_delay_alu instid0(VALU_DEP_2) | instskip(NEXT) | instid1(VALU_DEP_2)
	v_cmp_eq_u32_e32 vcc_lo, 0, v1
	v_cndmask_b32_e32 v2, v2, v10, vcc_lo
; %bb.435:
	s_or_b32 exec_lo, exec_lo, s0
	v_mul_lo_u32 v0, v0, s21
	s_ashr_i32 s0, s3, 31
	v_add_co_u32 v3, s1, s3, v29
	s_delay_alu instid0(VALU_DEP_1) | instskip(SKIP_2) | instid1(VALU_DEP_4)
	v_add_co_ci_u32_e64 v4, null, s0, 0, s1
	v_and_b32_e32 v5, 0xffff0000, v2
	s_mov_b32 s0, 0
	v_ashrrev_i32_e32 v1, 31, v0
	s_delay_alu instid0(VALU_DEP_3) | instskip(NEXT) | instid1(VALU_DEP_2)
	v_lshlrev_b64 v[3:4], 1, v[3:4]
	v_lshlrev_b64 v[0:1], 1, v[0:1]
	s_delay_alu instid0(VALU_DEP_1) | instskip(NEXT) | instid1(VALU_DEP_2)
	v_add_co_u32 v0, vcc_lo, s28, v0
	v_add_co_ci_u32_e32 v1, vcc_lo, s29, v1, vcc_lo
	s_delay_alu instid0(VALU_DEP_2) | instskip(NEXT) | instid1(VALU_DEP_2)
	v_add_co_u32 v0, vcc_lo, v0, v3
	v_add_co_ci_u32_e32 v1, vcc_lo, v1, v4, vcc_lo
	v_and_b32_e32 v4, 0xffff0000, v9
	global_load_b32 v3, v[0:1], off offset:32
	s_branch .LBB10_437
.LBB10_436:                             ;   in Loop: Header=BB10_437 Depth=1
	s_or_b32 exec_lo, exec_lo, s1
	v_lshrrev_b32_e32 v2, 16, v2
	s_delay_alu instid0(VALU_DEP_1)
	v_and_or_b32 v2, 0xffff0000, v7, v2
	global_atomic_cmpswap_b32 v2, v[0:1], v[2:3], off offset:32 glc
	s_waitcnt vmcnt(0)
	v_cmp_eq_u32_e32 vcc_lo, v2, v3
	v_mov_b32_e32 v3, v2
	s_or_b32 s0, vcc_lo, s0
	s_delay_alu instid0(SALU_CYCLE_1)
	s_and_not1_b32 exec_lo, exec_lo, s0
	s_cbranch_execz .LBB10_445
.LBB10_437:                             ; =>This Inner Loop Header: Depth=1
	s_waitcnt vmcnt(0)
	v_lshlrev_b32_e32 v2, 16, v3
	s_delay_alu instid0(VALU_DEP_1) | instskip(NEXT) | instid1(VALU_DEP_1)
	v_add_f32_e32 v6, v4, v2
	v_and_b32_e32 v2, 0x7f800000, v6
	s_delay_alu instid0(VALU_DEP_1) | instskip(SKIP_1) | instid1(SALU_CYCLE_1)
	v_cmp_ne_u32_e32 vcc_lo, 0x7f800000, v2
                                        ; implicit-def: $vgpr2
	s_and_saveexec_b32 s1, vcc_lo
	s_xor_b32 s1, exec_lo, s1
; %bb.438:                              ;   in Loop: Header=BB10_437 Depth=1
	v_bfe_u32 v2, v6, 16, 1
	s_delay_alu instid0(VALU_DEP_1)
	v_add3_u32 v2, v6, v2, 0x7fff
                                        ; implicit-def: $vgpr6
; %bb.439:                              ;   in Loop: Header=BB10_437 Depth=1
	s_and_not1_saveexec_b32 s1, s1
; %bb.440:                              ;   in Loop: Header=BB10_437 Depth=1
	v_and_b32_e32 v2, 0xffff, v6
	v_or_b32_e32 v7, 0x10000, v6
	s_delay_alu instid0(VALU_DEP_2) | instskip(NEXT) | instid1(VALU_DEP_2)
	v_cmp_eq_u32_e32 vcc_lo, 0, v2
	v_cndmask_b32_e32 v2, v7, v6, vcc_lo
; %bb.441:                              ;   in Loop: Header=BB10_437 Depth=1
	s_or_b32 exec_lo, exec_lo, s1
	v_and_b32_e32 v6, 0xffff0000, v3
	s_delay_alu instid0(VALU_DEP_1) | instskip(NEXT) | instid1(VALU_DEP_1)
	v_add_f32_e32 v6, v5, v6
	v_and_b32_e32 v7, 0x7f800000, v6
	s_delay_alu instid0(VALU_DEP_1) | instskip(SKIP_1) | instid1(SALU_CYCLE_1)
	v_cmp_ne_u32_e32 vcc_lo, 0x7f800000, v7
                                        ; implicit-def: $vgpr7
	s_and_saveexec_b32 s1, vcc_lo
	s_xor_b32 s1, exec_lo, s1
; %bb.442:                              ;   in Loop: Header=BB10_437 Depth=1
	v_bfe_u32 v7, v6, 16, 1
	s_delay_alu instid0(VALU_DEP_1)
	v_add3_u32 v7, v6, v7, 0x7fff
                                        ; implicit-def: $vgpr6
; %bb.443:                              ;   in Loop: Header=BB10_437 Depth=1
	s_and_not1_saveexec_b32 s1, s1
	s_cbranch_execz .LBB10_436
; %bb.444:                              ;   in Loop: Header=BB10_437 Depth=1
	v_and_b32_e32 v7, 0xffff, v6
	v_or_b32_e32 v8, 0x10000, v6
	s_delay_alu instid0(VALU_DEP_2) | instskip(NEXT) | instid1(VALU_DEP_2)
	v_cmp_eq_u32_e32 vcc_lo, 0, v7
	v_cndmask_b32_e32 v7, v8, v6, vcc_lo
	s_branch .LBB10_436
.LBB10_445:
	s_nop 0
	s_sendmsg sendmsg(MSG_DEALLOC_VGPRS)
	s_endpgm
	.section	.rodata,"a",@progbits
	.p2align	6, 0x0
	.amdhsa_kernel _ZN4vllm15gptq_rdna3_wmma28gemm_q4_wmma_kernel_64x32_4wI14__hip_bfloat16EEvPKT_PKjS7_S5_PS3_iiiiiPKi
		.amdhsa_group_segment_fixed_size 2048
		.amdhsa_private_segment_fixed_size 0
		.amdhsa_kernarg_size 328
		.amdhsa_user_sgpr_count 13
		.amdhsa_user_sgpr_dispatch_ptr 0
		.amdhsa_user_sgpr_queue_ptr 0
		.amdhsa_user_sgpr_kernarg_segment_ptr 1
		.amdhsa_user_sgpr_dispatch_id 0
		.amdhsa_user_sgpr_private_segment_size 0
		.amdhsa_wavefront_size32 1
		.amdhsa_uses_dynamic_stack 0
		.amdhsa_enable_private_segment 0
		.amdhsa_system_sgpr_workgroup_id_x 1
		.amdhsa_system_sgpr_workgroup_id_y 1
		.amdhsa_system_sgpr_workgroup_id_z 1
		.amdhsa_system_sgpr_workgroup_info 0
		.amdhsa_system_vgpr_workitem_id 0
		.amdhsa_next_free_vgpr 70
		.amdhsa_next_free_sgpr 52
		.amdhsa_reserve_vcc 1
		.amdhsa_float_round_mode_32 0
		.amdhsa_float_round_mode_16_64 0
		.amdhsa_float_denorm_mode_32 3
		.amdhsa_float_denorm_mode_16_64 3
		.amdhsa_dx10_clamp 1
		.amdhsa_ieee_mode 1
		.amdhsa_fp16_overflow 0
		.amdhsa_workgroup_processor_mode 1
		.amdhsa_memory_ordered 1
		.amdhsa_forward_progress 0
		.amdhsa_shared_vgpr_count 0
		.amdhsa_exception_fp_ieee_invalid_op 0
		.amdhsa_exception_fp_denorm_src 0
		.amdhsa_exception_fp_ieee_div_zero 0
		.amdhsa_exception_fp_ieee_overflow 0
		.amdhsa_exception_fp_ieee_underflow 0
		.amdhsa_exception_fp_ieee_inexact 0
		.amdhsa_exception_int_div_zero 0
	.end_amdhsa_kernel
	.section	.text._ZN4vllm15gptq_rdna3_wmma28gemm_q4_wmma_kernel_64x32_4wI14__hip_bfloat16EEvPKT_PKjS7_S5_PS3_iiiiiPKi,"axG",@progbits,_ZN4vllm15gptq_rdna3_wmma28gemm_q4_wmma_kernel_64x32_4wI14__hip_bfloat16EEvPKT_PKjS7_S5_PS3_iiiiiPKi,comdat
.Lfunc_end10:
	.size	_ZN4vllm15gptq_rdna3_wmma28gemm_q4_wmma_kernel_64x32_4wI14__hip_bfloat16EEvPKT_PKjS7_S5_PS3_iiiiiPKi, .Lfunc_end10-_ZN4vllm15gptq_rdna3_wmma28gemm_q4_wmma_kernel_64x32_4wI14__hip_bfloat16EEvPKT_PKjS7_S5_PS3_iiiiiPKi
                                        ; -- End function
	.section	.AMDGPU.csdata,"",@progbits
; Kernel info:
; codeLenInByte = 18320
; NumSgprs: 54
; NumVgprs: 70
; ScratchSize: 0
; MemoryBound: 1
; FloatMode: 240
; IeeeMode: 1
; LDSByteSize: 2048 bytes/workgroup (compile time only)
; SGPRBlocks: 6
; VGPRBlocks: 8
; NumSGPRsForWavesPerEU: 54
; NumVGPRsForWavesPerEU: 70
; Occupancy: 16
; WaveLimiterHint : 1
; COMPUTE_PGM_RSRC2:SCRATCH_EN: 0
; COMPUTE_PGM_RSRC2:USER_SGPR: 13
; COMPUTE_PGM_RSRC2:TRAP_HANDLER: 0
; COMPUTE_PGM_RSRC2:TGID_X_EN: 1
; COMPUTE_PGM_RSRC2:TGID_Y_EN: 1
; COMPUTE_PGM_RSRC2:TGID_Z_EN: 1
; COMPUTE_PGM_RSRC2:TIDIG_COMP_CNT: 0
	.section	.text._ZN4vllm15gptq_rdna3_wmma30gemm_q4_wmma_kernel_128x64_k32I14__hip_bfloat16EEvPKT_PKjS7_S5_PS3_iiiiiPKi,"axG",@progbits,_ZN4vllm15gptq_rdna3_wmma30gemm_q4_wmma_kernel_128x64_k32I14__hip_bfloat16EEvPKT_PKjS7_S5_PS3_iiiiiPKi,comdat
	.protected	_ZN4vllm15gptq_rdna3_wmma30gemm_q4_wmma_kernel_128x64_k32I14__hip_bfloat16EEvPKT_PKjS7_S5_PS3_iiiiiPKi ; -- Begin function _ZN4vllm15gptq_rdna3_wmma30gemm_q4_wmma_kernel_128x64_k32I14__hip_bfloat16EEvPKT_PKjS7_S5_PS3_iiiiiPKi
	.globl	_ZN4vllm15gptq_rdna3_wmma30gemm_q4_wmma_kernel_128x64_k32I14__hip_bfloat16EEvPKT_PKjS7_S5_PS3_iiiiiPKi
	.p2align	8
	.type	_ZN4vllm15gptq_rdna3_wmma30gemm_q4_wmma_kernel_128x64_k32I14__hip_bfloat16EEvPKT_PKjS7_S5_PS3_iiiiiPKi,@function
_ZN4vllm15gptq_rdna3_wmma30gemm_q4_wmma_kernel_128x64_k32I14__hip_bfloat16EEvPKT_PKjS7_S5_PS3_iiiiiPKi: ; @_ZN4vllm15gptq_rdna3_wmma30gemm_q4_wmma_kernel_128x64_k32I14__hip_bfloat16EEvPKT_PKjS7_S5_PS3_iiiiiPKi
; %bb.0:
	s_load_b128 s[16:19], s[0:1], 0x28
	s_lshl_b32 s22, s14, 7
	s_lshl_b32 s14, s13, 6
	s_waitcnt lgkmcnt(0)
	s_cmp_ge_i32 s22, s16
	s_cselect_b32 s2, -1, 0
	s_cmp_ge_i32 s14, s17
	s_cselect_b32 s3, -1, 0
	s_delay_alu instid0(SALU_CYCLE_1) | instskip(NEXT) | instid1(SALU_CYCLE_1)
	s_or_b32 s2, s2, s3
	s_and_b32 vcc_lo, exec_lo, s2
	s_cbranch_vccnz .LBB11_866
; %bb.1:
	s_load_b32 s20, s[0:1], 0x50
	s_abs_i32 s12, s19
	s_clause 0x1
	s_load_b64 s[2:3], s[0:1], 0x20
	s_load_b32 s21, s[0:1], 0x38
	v_cvt_f32_u32_e32 v1, s12
	s_load_b256 s[4:11], s[0:1], 0x0
	s_xor_b32 s1, s18, s19
	s_sub_i32 s19, 0, s12
	s_abs_i32 s13, s18
	v_rcp_iflag_f32_e32 v1, v1
	s_ashr_i32 s1, s1, 31
	v_dual_mov_b32 v58, 0 :: v_dual_and_b32 v53, 15, v0
	v_cmp_lt_u32_e32 vcc_lo, 0x7f, v0
	v_bfe_u32 v54, v0, 4, 1
	v_mov_b32_e32 v57, 0
	v_cndmask_b32_e64 v3, 0, 1, vcc_lo
	s_waitcnt lgkmcnt(0)
	v_cvt_f32_u32_e32 v2, s20
	s_delay_alu instid0(VALU_DEP_2) | instskip(SKIP_1) | instid1(VALU_DEP_3)
	v_lshl_or_b32 v56, v3, 1, v54
	v_mov_b32_e32 v59, -1
	v_rcp_iflag_f32_e32 v2, v2
	s_delay_alu instid0(VALU_DEP_2) | instskip(SKIP_3) | instid1(VALU_DEP_2)
	v_dual_mul_f32 v1, 0x4f7ffffe, v1 :: v_dual_lshlrev_b32 v34, 3, v56
	s_waitcnt_depctr 0xfff
	v_mul_f32_e32 v2, 0x4f7ffffe, v2
	v_cvt_u32_f32_e32 v1, v1
	v_cvt_u32_f32_e32 v2, v2
	s_delay_alu instid0(VALU_DEP_2) | instskip(SKIP_1) | instid1(VALU_DEP_3)
	v_readfirstlane_b32 s0, v1
	v_lshrrev_b32_e32 v1, 1, v0
	v_readfirstlane_b32 s24, v2
	s_delay_alu instid0(VALU_DEP_3) | instskip(NEXT) | instid1(VALU_DEP_2)
	s_mul_i32 s19, s19, s0
	v_and_or_b32 v33, v1, 48, v53
	s_mul_hi_u32 s19, s0, s19
	s_delay_alu instid0(SALU_CYCLE_1) | instskip(NEXT) | instid1(SALU_CYCLE_1)
	s_add_i32 s0, s0, s19
	s_mul_hi_u32 s0, s13, s0
	s_delay_alu instid0(VALU_DEP_1) | instskip(SKIP_1) | instid1(SALU_CYCLE_1)
	v_or_b32_e32 v49, s14, v33
	s_mul_i32 s19, s0, s12
	s_sub_i32 s13, s13, s19
	s_add_i32 s19, s0, 1
	s_sub_i32 s23, s13, s12
	s_cmp_ge_u32 s13, s12
	s_cselect_b32 s0, s19, s0
	s_cselect_b32 s13, s23, s13
	s_add_i32 s19, s0, 1
	s_cmp_ge_u32 s13, s12
	s_cselect_b32 s12, s19, s0
	s_sub_i32 s0, 0, s20
	s_xor_b32 s12, s12, s1
	s_mul_i32 s0, s0, s24
	s_sub_i32 s1, s12, s1
	s_mul_hi_u32 s0, s24, s0
	s_delay_alu instid0(SALU_CYCLE_1) | instskip(SKIP_2) | instid1(SALU_CYCLE_1)
	s_add_i32 s24, s24, s0
	v_cmp_le_i32_e64 s0, s17, v49
	s_mul_hi_u32 s13, s18, s24
	s_mul_i32 s19, s13, s20
	s_delay_alu instid0(SALU_CYCLE_1)
	s_sub_i32 s12, s18, s19
	s_add_i32 s19, s13, 1
	s_sub_i32 s23, s12, s20
	s_cmp_ge_u32 s12, s20
	s_cselect_b32 s13, s19, s13
	s_cselect_b32 s12, s23, s12
	s_add_i32 s19, s13, 1
	s_cmp_ge_u32 s12, s20
	s_cselect_b32 s13, s19, s13
	s_delay_alu instid0(SALU_CYCLE_1)
	s_mul_i32 s12, s13, s15
	s_mov_b32 s15, exec_lo
	v_cmpx_gt_i32_e64 s17, v49
	s_cbranch_execz .LBB11_5
; %bb.2:
	s_abs_i32 s19, s1
	s_abs_i32 s25, s12
	v_cvt_f32_u32_e32 v2, s19
	s_sub_i32 s24, 0, s19
	v_dual_mov_b32 v58, 0 :: v_dual_mov_b32 v57, 0
	s_delay_alu instid0(VALU_DEP_2) | instskip(SKIP_2) | instid1(VALU_DEP_1)
	v_rcp_iflag_f32_e32 v2, v2
	s_waitcnt_depctr 0xfff
	v_mul_f32_e32 v2, 0x4f7ffffe, v2
	v_cvt_u32_f32_e32 v2, v2
	s_delay_alu instid0(VALU_DEP_1) | instskip(NEXT) | instid1(VALU_DEP_1)
	v_readfirstlane_b32 s23, v2
	s_mul_i32 s24, s24, s23
	s_delay_alu instid0(SALU_CYCLE_1) | instskip(NEXT) | instid1(SALU_CYCLE_1)
	s_mul_hi_u32 s24, s23, s24
	s_add_i32 s23, s23, s24
	s_xor_b32 s24, s12, s1
	s_mul_hi_u32 s23, s25, s23
	s_ashr_i32 s24, s24, 31
	s_mul_i32 s26, s23, s19
	s_delay_alu instid0(SALU_CYCLE_1)
	s_sub_i32 s25, s25, s26
	s_add_i32 s26, s23, 1
	s_sub_i32 s27, s25, s19
	s_cmp_ge_u32 s25, s19
	s_cselect_b32 s23, s26, s23
	s_cselect_b32 s25, s27, s25
	s_add_i32 s26, s23, 1
	s_cmp_ge_u32 s25, s19
	s_cselect_b32 s19, s26, s23
	s_delay_alu instid0(SALU_CYCLE_1) | instskip(NEXT) | instid1(SALU_CYCLE_1)
	s_xor_b32 s19, s19, s24
	s_sub_i32 s19, s19, s24
	s_delay_alu instid0(SALU_CYCLE_1)
	s_cmp_eq_u32 s19, -1
	s_cbranch_scc1 .LBB11_4
; %bb.3:
	v_ashrrev_i32_e32 v2, 31, v49
	s_ashr_i32 s23, s17, 31
	s_delay_alu instid0(SALU_CYCLE_1) | instskip(NEXT) | instid1(SALU_CYCLE_1)
	s_lshr_b32 s23, s23, 29
	s_add_i32 s23, s17, s23
	s_delay_alu instid0(VALU_DEP_1) | instskip(SKIP_1) | instid1(VALU_DEP_1)
	v_lshrrev_b32_e32 v2, 29, v2
	s_ashr_i32 s23, s23, 3
	v_add_nc_u32_e32 v2, v49, v2
	s_delay_alu instid0(VALU_DEP_1) | instskip(NEXT) | instid1(VALU_DEP_1)
	v_ashrrev_i32_e32 v2, 3, v2
	v_mad_u64_u32 v[3:4], null, s19, s23, v[2:3]
	s_delay_alu instid0(VALU_DEP_1) | instskip(NEXT) | instid1(VALU_DEP_1)
	v_ashrrev_i32_e32 v4, 31, v3
	v_lshlrev_b64 v[2:3], 2, v[3:4]
	v_mad_u64_u32 v[4:5], null, s19, s17, v[49:50]
	s_delay_alu instid0(VALU_DEP_2) | instskip(NEXT) | instid1(VALU_DEP_3)
	v_add_co_u32 v2, vcc_lo, s8, v2
	v_add_co_ci_u32_e32 v3, vcc_lo, s9, v3, vcc_lo
	s_delay_alu instid0(VALU_DEP_3) | instskip(SKIP_2) | instid1(VALU_DEP_1)
	v_ashrrev_i32_e32 v5, 31, v4
	global_load_b32 v6, v[2:3], off
	v_lshlrev_b64 v[2:3], 1, v[4:5]
	v_add_co_u32 v2, vcc_lo, s10, v2
	s_delay_alu instid0(VALU_DEP_2) | instskip(SKIP_2) | instid1(VALU_DEP_1)
	v_add_co_ci_u32_e32 v3, vcc_lo, s11, v3, vcc_lo
	global_load_u16 v2, v[2:3], off
	v_lshlrev_b32_e32 v3, 2, v0
	v_and_b32_e32 v3, 28, v3
	s_waitcnt vmcnt(1)
	s_delay_alu instid0(VALU_DEP_1) | instskip(NEXT) | instid1(VALU_DEP_1)
	v_bfe_u32 v3, v6, v3, 4
	v_add_nc_u32_e32 v3, s21, v3
	s_delay_alu instid0(VALU_DEP_1) | instskip(SKIP_1) | instid1(VALU_DEP_1)
	v_cvt_f32_u32_e32 v3, v3
	s_waitcnt vmcnt(0)
	v_dual_add_f32 v2, 0x43000000, v3 :: v_dual_lshlrev_b32 v57, 16, v2
	s_delay_alu instid0(VALU_DEP_1)
	v_mul_f32_e64 v58, v57, -v2
.LBB11_4:
	s_ashr_i32 s23, s12, 31
	v_lshlrev_b32_e32 v6, 1, v34
	s_lshr_b32 s23, s23, 29
	v_mov_b32_e32 v59, s19
	s_add_i32 s23, s12, s23
	s_delay_alu instid0(SALU_CYCLE_1) | instskip(SKIP_3) | instid1(VALU_DEP_1)
	s_ashr_i32 s23, s23, 3
	v_mad_u32_u24 v6, 0x44, v33, v6
	v_add_nc_u32_e32 v4, s23, v56
	s_mov_b32 s23, 0xf000f
	v_mad_u64_u32 v[2:3], null, v4, s17, v[49:50]
	s_delay_alu instid0(VALU_DEP_1) | instskip(NEXT) | instid1(VALU_DEP_1)
	v_ashrrev_i32_e32 v3, 31, v2
	v_lshlrev_b64 v[2:3], 2, v[2:3]
	s_delay_alu instid0(VALU_DEP_1) | instskip(NEXT) | instid1(VALU_DEP_2)
	v_add_co_u32 v2, vcc_lo, s6, v2
	v_add_co_ci_u32_e32 v3, vcc_lo, s7, v3, vcc_lo
	global_load_b32 v2, v[2:3], off
	s_waitcnt vmcnt(0)
	v_lshrrev_b32_e32 v3, 4, v2
	v_lshrrev_b32_e32 v4, 8, v2
	v_lshrrev_b32_e32 v5, 12, v2
	v_and_or_b32 v2, v2, s23, 0x43004300
	s_delay_alu instid0(VALU_DEP_4) | instskip(NEXT) | instid1(VALU_DEP_4)
	v_and_or_b32 v3, v3, s23, 0x43004300
	v_and_or_b32 v4, v4, s23, 0x43004300
	s_delay_alu instid0(VALU_DEP_4) | instskip(NEXT) | instid1(VALU_DEP_4)
	v_and_or_b32 v5, v5, s23, 0x43004300
	v_and_b32_e32 v7, 0x430f0000, v2
	v_lshlrev_b32_e32 v2, 16, v2
	v_lshlrev_b32_e32 v8, 16, v3
	v_and_b32_e32 v3, 0x430f0000, v3
	v_lshlrev_b32_e32 v9, 16, v4
	v_fma_f32 v7, v7, v57, v58
	v_fma_f32 v2, v2, v57, v58
	v_and_b32_e32 v4, 0x430f0000, v4
	v_lshlrev_b32_e32 v10, 16, v5
	v_and_b32_e32 v5, 0x430f0000, v5
	v_bfe_u32 v11, v7, 16, 1
	v_bfe_u32 v12, v2, 16, 1
	v_fma_f32 v8, v8, v57, v58
	v_fma_f32 v3, v3, v57, v58
	;; [unrolled: 1-line block ×6, first 2 shown]
	v_add3_u32 v2, v2, v12, 0x7fff
	v_add3_u32 v7, v7, v11, 0x7fff
	v_bfe_u32 v11, v3, 16, 1
	v_bfe_u32 v12, v8, 16, 1
	;; [unrolled: 1-line block ×6, first 2 shown]
	v_add3_u32 v8, v8, v12, 0x7fff
	v_add3_u32 v3, v3, v11, 0x7fff
	v_add3_u32 v9, v9, v14, 0x7fff
	v_add3_u32 v10, v10, v15, 0x7fff
	v_add3_u32 v5, v5, v16, 0x7fff
	v_add3_u32 v4, v4, v13, 0x7fff
	v_perm_b32 v2, v7, v2, 0x7060302
	v_perm_b32 v3, v3, v8, 0x7060302
	s_delay_alu instid0(VALU_DEP_4) | instskip(NEXT) | instid1(VALU_DEP_4)
	v_perm_b32 v5, v5, v10, 0x7060302
	v_perm_b32 v4, v4, v9, 0x7060302
	ds_store_2addr_b32 v6, v2, v3 offset1:1
	ds_store_2addr_b32 v6, v4, v5 offset0:2 offset1:3
.LBB11_5:
	s_or_b32 exec_lo, exec_lo, s15
	v_dual_mov_b32 v32, 0 :: v_dual_and_b32 v1, 0x1f0, v1
	s_cmp_lt_i32 s13, 1
	s_waitcnt lgkmcnt(0)
	s_barrier
	s_delay_alu instid0(VALU_DEP_1)
	v_dual_mov_b32 v30, v32 :: v_dual_add_nc_u32 v55, s22, v1
	v_mov_b32_e32 v31, v32
	v_mov_b32_e32 v29, v32
	;; [unrolled: 1-line block ×30, first 2 shown]
	s_mov_b32 s22, 0
	buffer_gl0_inv
	s_cbranch_scc1 .LBB11_15
; %bb.6:
	v_or_b32_e32 v3, v55, v53
	s_abs_i32 s15, s1
	v_ashrrev_i32_e32 v5, 31, v49
	v_cvt_f32_u32_e32 v2, s15
	s_ashr_i32 s23, s17, 31
	v_mul_lo_u32 v1, v3, s18
	v_dual_mov_b32 v25, 0 :: v_dual_lshlrev_b32 v6, 2, v0
	s_delay_alu instid0(VALU_DEP_3) | instskip(SKIP_4) | instid1(VALU_DEP_3)
	v_rcp_iflag_f32_e32 v4, v2
	v_lshrrev_b32_e32 v5, 29, v5
	s_ashr_i32 s19, s1, 31
	s_lshr_b32 s1, s23, 29
	s_sub_i32 s23, 0, s15
	v_ashrrev_i32_e32 v2, 31, v1
	s_add_i32 s1, s17, s1
	s_add_i32 s18, s12, s13
	s_ashr_i32 s13, s12, 31
	v_dual_mov_b32 v26, v25 :: v_dual_lshlrev_b32 v61, 1, v34
	v_lshlrev_b64 v[1:2], 1, v[1:2]
	s_waitcnt_depctr 0xfff
	v_mul_f32_e32 v4, 0x4f7ffffe, v4
	s_lshl_b64 s[24:25], s[12:13], 1
	v_mul_u32_u24_e32 v62, 0x44, v33
	v_mov_b32_e32 v28, v25
	v_mov_b32_e32 v29, v25
	v_add_co_u32 v1, vcc_lo, s4, v1
	v_add_co_ci_u32_e32 v2, vcc_lo, s5, v2, vcc_lo
	v_cmp_gt_i32_e32 vcc_lo, s16, v3
	v_add_nc_u32_e32 v3, v49, v5
	v_cvt_u32_f32_e32 v4, v4
	v_and_b32_e32 v60, 28, v6
	s_ashr_i32 s4, s1, 3
	v_dual_cndmask_b32 v1, 0, v1 :: v_dual_cndmask_b32 v2, 0, v2
	v_mov_b32_e32 v27, v25
	v_readfirstlane_b32 s5, v4
	v_ashrrev_i32_e32 v50, 3, v3
	v_mov_b32_e32 v30, v25
	v_cmp_ne_u64_e32 vcc_lo, 0, v[1:2]
	v_mov_b32_e32 v31, v25
	s_mul_i32 s23, s23, s5
	v_mov_b32_e32 v32, v25
	s_mul_hi_u32 s1, s5, s23
	v_mov_b32_e32 v17, v25
	s_add_i32 s5, s5, s1
	s_add_u32 s1, s24, 32
	s_addc_u32 s13, s25, 0
	v_add_co_u32 v51, s1, v1, s1
	s_delay_alu instid0(VALU_DEP_1)
	v_add_co_ci_u32_e64 v52, s1, s13, v2, s1
	v_mov_b32_e32 v18, v25
	v_mov_b32_e32 v19, v25
	;; [unrolled: 1-line block ×23, first 2 shown]
	s_add_i32 s13, s12, 32
	s_xor_b32 s1, s0, -1
	s_mov_b32 s12, 0xf000f
.LBB11_7:                               ; =>This Inner Loop Header: Depth=1
	s_cmp_lt_i32 s13, s18
	s_cselect_b32 s0, -1, 0
	s_delay_alu instid0(SALU_CYCLE_1) | instskip(NEXT) | instid1(SALU_CYCLE_1)
	s_and_b32 s0, s1, s0
	s_and_saveexec_b32 s23, s0
	s_cbranch_execz .LBB11_11
; %bb.8:                                ;   in Loop: Header=BB11_7 Depth=1
	s_abs_i32 s0, s13
	s_ashr_i32 s24, s13, 31
	s_mul_hi_u32 s25, s0, s5
	s_xor_b32 s27, s24, s19
	s_mul_i32 s26, s25, s15
	s_delay_alu instid0(SALU_CYCLE_1)
	s_sub_i32 s0, s0, s26
	s_add_i32 s26, s25, 1
	s_sub_i32 s28, s0, s15
	s_cmp_ge_u32 s0, s15
	s_cselect_b32 s25, s26, s25
	s_cselect_b32 s0, s28, s0
	s_add_i32 s26, s25, 1
	s_cmp_ge_u32 s0, s15
	s_cselect_b32 s0, s26, s25
	s_mov_b32 s25, exec_lo
	s_xor_b32 s0, s0, s27
	s_delay_alu instid0(SALU_CYCLE_1) | instskip(NEXT) | instid1(SALU_CYCLE_1)
	s_sub_i32 s26, s0, s27
	v_cmpx_ne_u32_e64 s26, v59
	s_cbranch_execz .LBB11_10
; %bb.9:                                ;   in Loop: Header=BB11_7 Depth=1
	v_mad_u64_u32 v[33:34], null, s26, s4, v[50:51]
	v_mad_u64_u32 v[35:36], null, s26, s17, v[49:50]
	v_mov_b32_e32 v59, s26
	s_delay_alu instid0(VALU_DEP_3) | instskip(NEXT) | instid1(VALU_DEP_3)
	v_ashrrev_i32_e32 v34, 31, v33
	v_ashrrev_i32_e32 v36, 31, v35
	s_delay_alu instid0(VALU_DEP_2) | instskip(NEXT) | instid1(VALU_DEP_1)
	v_lshlrev_b64 v[33:34], 2, v[33:34]
	v_add_co_u32 v33, s0, s8, v33
	s_delay_alu instid0(VALU_DEP_1) | instskip(SKIP_2) | instid1(VALU_DEP_1)
	v_add_co_ci_u32_e64 v34, s0, s9, v34, s0
	global_load_b32 v37, v[33:34], off
	v_lshlrev_b64 v[33:34], 1, v[35:36]
	v_add_co_u32 v33, s0, s10, v33
	s_delay_alu instid0(VALU_DEP_1) | instskip(SKIP_3) | instid1(VALU_DEP_1)
	v_add_co_ci_u32_e64 v34, s0, s11, v34, s0
	global_load_u16 v33, v[33:34], off
	s_waitcnt vmcnt(1)
	v_bfe_u32 v34, v37, v60, 4
	v_add_nc_u32_e32 v34, s21, v34
	s_delay_alu instid0(VALU_DEP_1) | instskip(SKIP_2) | instid1(VALU_DEP_2)
	v_cvt_f32_u32_e32 v34, v34
	s_waitcnt vmcnt(0)
	v_lshlrev_b32_e32 v57, 16, v33
	v_add_f32_e32 v33, 0x43000000, v34
	s_delay_alu instid0(VALU_DEP_1)
	v_mul_f32_e64 v58, v57, -v33
.LBB11_10:                              ;   in Loop: Header=BB11_7 Depth=1
	s_or_b32 exec_lo, exec_lo, s25
	s_lshr_b32 s0, s24, 29
	s_delay_alu instid0(SALU_CYCLE_1) | instskip(NEXT) | instid1(SALU_CYCLE_1)
	s_add_i32 s0, s13, s0
	s_ashr_i32 s0, s0, 3
	s_delay_alu instid0(SALU_CYCLE_1) | instskip(NEXT) | instid1(VALU_DEP_1)
	v_add_nc_u32_e32 v35, s0, v56
	v_mad_u64_u32 v[33:34], null, v35, s17, v[49:50]
	s_delay_alu instid0(VALU_DEP_1) | instskip(NEXT) | instid1(VALU_DEP_1)
	v_ashrrev_i32_e32 v34, 31, v33
	v_lshlrev_b64 v[33:34], 2, v[33:34]
	s_delay_alu instid0(VALU_DEP_1) | instskip(NEXT) | instid1(VALU_DEP_1)
	v_add_co_u32 v33, s0, s6, v33
	v_add_co_ci_u32_e64 v34, s0, s7, v34, s0
	s_sub_i32 s0, 0, s22
	s_delay_alu instid0(SALU_CYCLE_1) | instskip(SKIP_2) | instid1(VALU_DEP_1)
	s_mulk_i32 s0, 0x1100
	global_load_b32 v33, v[33:34], off
	v_add3_u32 v34, s0, v62, v61
	v_add_nc_u32_e32 v38, 0x1100, v34
	v_add_nc_u32_e32 v34, 0x1108, v34
	s_waitcnt vmcnt(0)
	v_lshrrev_b32_e32 v35, 4, v33
	v_lshrrev_b32_e32 v36, 8, v33
	;; [unrolled: 1-line block ×3, first 2 shown]
	v_and_or_b32 v33, v33, s12, 0x43004300
	s_delay_alu instid0(VALU_DEP_4) | instskip(NEXT) | instid1(VALU_DEP_4)
	v_and_or_b32 v35, v35, s12, 0x43004300
	v_and_or_b32 v36, v36, s12, 0x43004300
	s_delay_alu instid0(VALU_DEP_4) | instskip(NEXT) | instid1(VALU_DEP_4)
	v_and_or_b32 v37, v37, s12, 0x43004300
	v_and_b32_e32 v39, 0x430f0000, v33
	v_lshlrev_b32_e32 v33, 16, v33
	v_lshlrev_b32_e32 v40, 16, v35
	v_and_b32_e32 v35, 0x430f0000, v35
	v_lshlrev_b32_e32 v41, 16, v36
	v_fma_f32 v39, v39, v57, v58
	v_fma_f32 v33, v33, v57, v58
	v_and_b32_e32 v36, 0x430f0000, v36
	v_lshlrev_b32_e32 v42, 16, v37
	v_and_b32_e32 v37, 0x430f0000, v37
	v_bfe_u32 v43, v39, 16, 1
	v_bfe_u32 v44, v33, 16, 1
	v_fma_f32 v40, v40, v57, v58
	v_fma_f32 v35, v35, v57, v58
	;; [unrolled: 1-line block ×6, first 2 shown]
	v_add3_u32 v33, v33, v44, 0x7fff
	v_add3_u32 v39, v39, v43, 0x7fff
	v_bfe_u32 v43, v35, 16, 1
	v_bfe_u32 v44, v40, 16, 1
	;; [unrolled: 1-line block ×6, first 2 shown]
	v_add3_u32 v40, v40, v44, 0x7fff
	v_add3_u32 v35, v35, v43, 0x7fff
	;; [unrolled: 1-line block ×6, first 2 shown]
	v_perm_b32 v33, v39, v33, 0x7060302
	v_perm_b32 v35, v35, v40, 0x7060302
	s_delay_alu instid0(VALU_DEP_4) | instskip(NEXT) | instid1(VALU_DEP_4)
	v_perm_b32 v37, v37, v42, 0x7060302
	v_perm_b32 v36, v36, v41, 0x7060302
	ds_store_2addr_b32 v38, v33, v35 offset1:1
	ds_store_2addr_b32 v34, v36, v37 offset1:1
.LBB11_11:                              ;   in Loop: Header=BB11_7 Depth=1
	s_or_b32 exec_lo, exec_lo, s23
	v_mov_b32_e32 v33, 0
	s_delay_alu instid0(VALU_DEP_1)
	v_mov_b32_e32 v34, v33
	v_mov_b32_e32 v35, v33
	;; [unrolled: 1-line block ×15, first 2 shown]
	s_and_saveexec_b32 s0, vcc_lo
; %bb.12:                               ;   in Loop: Header=BB11_7 Depth=1
	s_clause 0x3
	global_load_b128 v[41:44], v[51:52], off offset:-32
	global_load_b128 v[45:48], v[51:52], off offset:-16
	global_load_b128 v[33:36], v[51:52], off
	global_load_b128 v[37:40], v[51:52], off offset:16
; %bb.13:                               ;   in Loop: Header=BB11_7 Depth=1
	s_or_b32 exec_lo, exec_lo, s0
	s_mul_i32 s0, s22, 0x1100
	s_sub_i32 s22, 1, s22
	v_mad_u32_u24 v111, 0x44, v53, s0
	v_add_co_u32 v51, s0, v51, 64
	s_delay_alu instid0(VALU_DEP_1) | instskip(NEXT) | instid1(VALU_DEP_3)
	v_add_co_ci_u32_e64 v52, s0, 0, v52, s0
	v_add_nc_u32_e32 v71, 0x450, v111
	v_add_nc_u32_e32 v72, 0x448, v111
	;; [unrolled: 1-line block ×12, first 2 shown]
	ds_load_2addr_b32 v[69:70], v111 offset0:6 offset1:7
	ds_load_2addr_b32 v[67:68], v111 offset0:4 offset1:5
	;; [unrolled: 1-line block ×3, first 2 shown]
	ds_load_2addr_b32 v[63:64], v111 offset1:1
	ds_load_2addr_b32 v[73:74], v72 offset1:1
	;; [unrolled: 1-line block ×10, first 2 shown]
	v_add_nc_u32_e32 v96, 0x468, v111
	ds_load_2addr_b32 v[91:92], v87 offset1:1
	ds_load_2addr_b32 v[93:94], v93 offset1:1
	ds_load_2addr_b32 v[87:88], v95 offset1:1
	v_add_nc_u32_e32 v95, 0x470, v111
	v_add_nc_u32_e32 v101, 0x478, v111
	;; [unrolled: 1-line block ×6, first 2 shown]
	ds_load_2addr_b32 v[97:98], v96 offset1:1
	ds_load_2addr_b32 v[99:100], v95 offset1:1
	;; [unrolled: 1-line block ×4, first 2 shown]
	v_add_nc_u32_e32 v103, 0x8a0, v111
	v_add_nc_u32_e32 v112, 0xcf8, v111
	v_add_nc_u32_e32 v113, 0xcf0, v111
	v_add_nc_u32_e32 v114, 0xce8, v111
	ds_load_2addr_b32 v[105:106], v105 offset1:1
	ds_load_2addr_b32 v[107:108], v104 offset1:1
	;; [unrolled: 1-line block ×7, first 2 shown]
	ds_load_2addr_b32 v[125:126], v111 offset0:14 offset1:15
	ds_load_2addr_b32 v[123:124], v111 offset0:12 offset1:13
	;; [unrolled: 1-line block ×4, first 2 shown]
	v_add_nc_u32_e32 v111, 0xce0, v111
	s_waitcnt vmcnt(2) lgkmcnt(27)
	v_wmma_f32_16x16x16_bf16 v[25:32], v[41:48], v[63:70], v[25:32]
	s_waitcnt lgkmcnt(23)
	v_wmma_f32_16x16x16_bf16 v[17:24], v[41:48], v[71:78], v[17:24]
	s_waitcnt lgkmcnt(19)
	v_wmma_f32_16x16x16_bf16 v[9:16], v[41:48], v[79:86], v[9:16]
	s_add_i32 s0, s13, 32
	ds_load_2addr_b32 v[111:112], v111 offset1:1
	s_waitcnt lgkmcnt(16)
	v_wmma_f32_16x16x16_bf16 v[1:8], v[41:48], v[87:94], v[1:8]
	s_cmp_ge_i32 s13, s18
	s_waitcnt vmcnt(0) lgkmcnt(0)
	s_barrier
	buffer_gl0_inv
	v_wmma_f32_16x16x16_bf16 v[17:24], v[33:40], v[95:102], v[17:24]
	v_wmma_f32_16x16x16_bf16 v[9:16], v[33:40], v[103:110], v[9:16]
	;; [unrolled: 1-line block ×4, first 2 shown]
	s_cbranch_scc1 .LBB11_15
; %bb.14:                               ;   in Loop: Header=BB11_7 Depth=1
	s_mov_b32 s13, s0
	s_branch .LBB11_7
.LBB11_15:
	s_cmp_lt_u32 s20, 2
	s_mov_b32 s0, -1
	s_cselect_b32 s4, -1, 0
	s_delay_alu instid0(SALU_CYCLE_1)
	s_and_b32 vcc_lo, exec_lo, s4
	s_cbranch_vccnz .LBB11_23
; %bb.16:
	s_and_not1_b32 vcc_lo, exec_lo, s0
	s_cbranch_vccz .LBB11_73
.LBB11_17:
	s_or_b32 s0, s14, 16
	s_and_b32 vcc_lo, exec_lo, s4
	s_mov_b32 s1, -1
	s_cbranch_vccnz .LBB11_234
.LBB11_18:
	s_and_not1_b32 vcc_lo, exec_lo, s1
	s_cbranch_vccz .LBB11_284
.LBB11_19:
	s_or_b32 s0, s14, 32
	s_and_b32 vcc_lo, exec_lo, s4
	s_mov_b32 s1, -1
	s_cbranch_vccnz .LBB11_445
.LBB11_20:
	s_and_not1_b32 vcc_lo, exec_lo, s1
	s_cbranch_vccz .LBB11_495
.LBB11_21:
	s_or_b32 s0, s14, 48
	s_and_b32 vcc_lo, exec_lo, s4
	s_mov_b32 s1, -1
	s_cbranch_vccnz .LBB11_656
.LBB11_22:
	s_and_not1_b32 vcc_lo, exec_lo, s1
	s_cbranch_vccz .LBB11_706
	s_branch .LBB11_866
.LBB11_23:
	v_or_b32_e32 v33, s14, v53
	s_mov_b32 s0, exec_lo
	s_delay_alu instid0(VALU_DEP_1)
	v_cmpx_gt_i32_e64 s17, v33
	s_cbranch_execz .LBB11_72
; %bb.24:
	v_or_b32_e32 v35, v55, v54
	v_ashrrev_i32_e32 v34, 31, v33
	s_mov_b32 s1, exec_lo
	s_delay_alu instid0(VALU_DEP_2)
	v_cmpx_gt_i32_e64 s16, v35
	s_cbranch_execz .LBB11_30
; %bb.25:
	v_and_b32_e32 v36, 0x7f800000, v25
	s_delay_alu instid0(VALU_DEP_1) | instskip(SKIP_1) | instid1(SALU_CYCLE_1)
	v_cmp_ne_u32_e32 vcc_lo, 0x7f800000, v36
                                        ; implicit-def: $vgpr36
	s_and_saveexec_b32 s5, vcc_lo
	s_xor_b32 s5, exec_lo, s5
; %bb.26:
	v_bfe_u32 v36, v25, 16, 1
	s_delay_alu instid0(VALU_DEP_1)
	v_add3_u32 v36, v25, v36, 0x7fff
; %bb.27:
	s_and_not1_saveexec_b32 s5, s5
; %bb.28:
	v_and_b32_e32 v36, 0xffff, v25
	v_or_b32_e32 v37, 0x10000, v25
	s_delay_alu instid0(VALU_DEP_2) | instskip(NEXT) | instid1(VALU_DEP_2)
	v_cmp_eq_u32_e32 vcc_lo, 0, v36
	v_cndmask_b32_e32 v36, v37, v25, vcc_lo
; %bb.29:
	s_or_b32 exec_lo, exec_lo, s5
	v_mul_lo_u32 v37, v35, s17
	v_lshlrev_b64 v[39:40], 1, v[33:34]
	s_delay_alu instid0(VALU_DEP_2) | instskip(NEXT) | instid1(VALU_DEP_1)
	v_ashrrev_i32_e32 v38, 31, v37
	v_lshlrev_b64 v[37:38], 1, v[37:38]
	s_delay_alu instid0(VALU_DEP_1) | instskip(NEXT) | instid1(VALU_DEP_2)
	v_add_co_u32 v37, vcc_lo, s2, v37
	v_add_co_ci_u32_e32 v38, vcc_lo, s3, v38, vcc_lo
	s_delay_alu instid0(VALU_DEP_2) | instskip(NEXT) | instid1(VALU_DEP_2)
	v_add_co_u32 v37, vcc_lo, v37, v39
	v_add_co_ci_u32_e32 v38, vcc_lo, v38, v40, vcc_lo
	global_store_d16_hi_b16 v[37:38], v36, off
.LBB11_30:
	s_or_b32 exec_lo, exec_lo, s1
	v_or_b32_e32 v36, 2, v35
	s_mov_b32 s1, exec_lo
	s_delay_alu instid0(VALU_DEP_1)
	v_cmpx_gt_i32_e64 s16, v36
	s_cbranch_execz .LBB11_36
; %bb.31:
	v_and_b32_e32 v37, 0x7f800000, v26
	s_delay_alu instid0(VALU_DEP_1) | instskip(SKIP_1) | instid1(SALU_CYCLE_1)
	v_cmp_ne_u32_e32 vcc_lo, 0x7f800000, v37
                                        ; implicit-def: $vgpr37
	s_and_saveexec_b32 s5, vcc_lo
	s_xor_b32 s5, exec_lo, s5
; %bb.32:
	v_bfe_u32 v37, v26, 16, 1
	s_delay_alu instid0(VALU_DEP_1)
	v_add3_u32 v37, v26, v37, 0x7fff
; %bb.33:
	s_and_not1_saveexec_b32 s5, s5
; %bb.34:
	v_and_b32_e32 v37, 0xffff, v26
	v_or_b32_e32 v38, 0x10000, v26
	s_delay_alu instid0(VALU_DEP_2) | instskip(NEXT) | instid1(VALU_DEP_2)
	v_cmp_eq_u32_e32 vcc_lo, 0, v37
	v_cndmask_b32_e32 v37, v38, v26, vcc_lo
; %bb.35:
	s_or_b32 exec_lo, exec_lo, s5
	v_mul_lo_u32 v38, v36, s17
	v_lshlrev_b64 v[40:41], 1, v[33:34]
	s_delay_alu instid0(VALU_DEP_2) | instskip(NEXT) | instid1(VALU_DEP_1)
	v_ashrrev_i32_e32 v39, 31, v38
	v_lshlrev_b64 v[38:39], 1, v[38:39]
	s_delay_alu instid0(VALU_DEP_1) | instskip(NEXT) | instid1(VALU_DEP_2)
	v_add_co_u32 v36, vcc_lo, s2, v38
	v_add_co_ci_u32_e32 v39, vcc_lo, s3, v39, vcc_lo
	s_delay_alu instid0(VALU_DEP_2) | instskip(NEXT) | instid1(VALU_DEP_2)
	v_add_co_u32 v38, vcc_lo, v36, v40
	v_add_co_ci_u32_e32 v39, vcc_lo, v39, v41, vcc_lo
	global_store_d16_hi_b16 v[38:39], v37, off
.LBB11_36:
	s_or_b32 exec_lo, exec_lo, s1
	v_or_b32_e32 v36, 4, v35
	s_mov_b32 s1, exec_lo
	s_delay_alu instid0(VALU_DEP_1)
	v_cmpx_gt_i32_e64 s16, v36
	s_cbranch_execz .LBB11_42
; %bb.37:
	v_and_b32_e32 v37, 0x7f800000, v27
	s_delay_alu instid0(VALU_DEP_1) | instskip(SKIP_1) | instid1(SALU_CYCLE_1)
	v_cmp_ne_u32_e32 vcc_lo, 0x7f800000, v37
                                        ; implicit-def: $vgpr37
	s_and_saveexec_b32 s5, vcc_lo
	s_xor_b32 s5, exec_lo, s5
; %bb.38:
	v_bfe_u32 v37, v27, 16, 1
	s_delay_alu instid0(VALU_DEP_1)
	v_add3_u32 v37, v27, v37, 0x7fff
; %bb.39:
	s_and_not1_saveexec_b32 s5, s5
; %bb.40:
	v_and_b32_e32 v37, 0xffff, v27
	v_or_b32_e32 v38, 0x10000, v27
	s_delay_alu instid0(VALU_DEP_2) | instskip(NEXT) | instid1(VALU_DEP_2)
	v_cmp_eq_u32_e32 vcc_lo, 0, v37
	v_cndmask_b32_e32 v37, v38, v27, vcc_lo
; %bb.41:
	s_or_b32 exec_lo, exec_lo, s5
	v_mul_lo_u32 v38, v36, s17
	v_lshlrev_b64 v[40:41], 1, v[33:34]
	s_delay_alu instid0(VALU_DEP_2) | instskip(NEXT) | instid1(VALU_DEP_1)
	v_ashrrev_i32_e32 v39, 31, v38
	v_lshlrev_b64 v[38:39], 1, v[38:39]
	s_delay_alu instid0(VALU_DEP_1) | instskip(NEXT) | instid1(VALU_DEP_2)
	v_add_co_u32 v36, vcc_lo, s2, v38
	v_add_co_ci_u32_e32 v39, vcc_lo, s3, v39, vcc_lo
	s_delay_alu instid0(VALU_DEP_2) | instskip(NEXT) | instid1(VALU_DEP_2)
	v_add_co_u32 v38, vcc_lo, v36, v40
	v_add_co_ci_u32_e32 v39, vcc_lo, v39, v41, vcc_lo
	global_store_d16_hi_b16 v[38:39], v37, off
.LBB11_42:
	;; [unrolled: 40-line block ×6, first 2 shown]
	s_or_b32 exec_lo, exec_lo, s1
	v_or_b32_e32 v35, 14, v35
	s_delay_alu instid0(VALU_DEP_1)
	v_cmp_gt_i32_e32 vcc_lo, s16, v35
	s_and_b32 exec_lo, exec_lo, vcc_lo
	s_cbranch_execz .LBB11_72
; %bb.67:
	v_and_b32_e32 v36, 0x7f800000, v32
	s_delay_alu instid0(VALU_DEP_1) | instskip(SKIP_1) | instid1(SALU_CYCLE_1)
	v_cmp_ne_u32_e32 vcc_lo, 0x7f800000, v36
                                        ; implicit-def: $vgpr36
	s_and_saveexec_b32 s1, vcc_lo
	s_xor_b32 s1, exec_lo, s1
; %bb.68:
	v_bfe_u32 v36, v32, 16, 1
	s_delay_alu instid0(VALU_DEP_1)
	v_add3_u32 v36, v32, v36, 0x7fff
; %bb.69:
	s_and_not1_saveexec_b32 s1, s1
; %bb.70:
	v_and_b32_e32 v36, 0xffff, v32
	v_or_b32_e32 v37, 0x10000, v32
	s_delay_alu instid0(VALU_DEP_2) | instskip(NEXT) | instid1(VALU_DEP_2)
	v_cmp_eq_u32_e32 vcc_lo, 0, v36
	v_cndmask_b32_e32 v36, v37, v32, vcc_lo
; %bb.71:
	s_or_b32 exec_lo, exec_lo, s1
	v_mul_lo_u32 v37, v35, s17
	v_lshlrev_b64 v[33:34], 1, v[33:34]
	s_delay_alu instid0(VALU_DEP_2) | instskip(NEXT) | instid1(VALU_DEP_1)
	v_ashrrev_i32_e32 v38, 31, v37
	v_lshlrev_b64 v[37:38], 1, v[37:38]
	s_delay_alu instid0(VALU_DEP_1) | instskip(NEXT) | instid1(VALU_DEP_2)
	v_add_co_u32 v35, vcc_lo, s2, v37
	v_add_co_ci_u32_e32 v37, vcc_lo, s3, v38, vcc_lo
	s_delay_alu instid0(VALU_DEP_2) | instskip(NEXT) | instid1(VALU_DEP_2)
	v_add_co_u32 v33, vcc_lo, v35, v33
	v_add_co_ci_u32_e32 v34, vcc_lo, v37, v34, vcc_lo
	global_store_d16_hi_b16 v[33:34], v36, off
.LBB11_72:
	s_or_b32 exec_lo, exec_lo, s0
	s_cbranch_execnz .LBB11_17
.LBB11_73:
	v_mbcnt_lo_u32_b32 v33, -1, 0
	s_delay_alu instid0(VALU_DEP_1) | instskip(NEXT) | instid1(VALU_DEP_1)
	v_xor_b32_e32 v34, 1, v33
	v_cmp_gt_i32_e32 vcc_lo, 32, v34
	v_dual_cndmask_b32 v33, v33, v34 :: v_dual_and_b32 v34, 1, v0
	s_delay_alu instid0(VALU_DEP_1) | instskip(SKIP_1) | instid1(VALU_DEP_3)
	v_lshlrev_b32_e32 v39, 2, v33
	v_or_b32_e32 v33, s14, v53
	v_cmp_eq_u32_e32 vcc_lo, 0, v34
	ds_bpermute_b32 v35, v39, v25
	v_ashrrev_i32_e32 v34, 31, v33
	s_and_saveexec_b32 s5, vcc_lo
	s_cbranch_execz .LBB11_93
; %bb.74:
	v_or_b32_e32 v36, v55, v54
	v_cmp_gt_i32_e64 s1, s17, v33
	s_delay_alu instid0(VALU_DEP_2) | instskip(NEXT) | instid1(VALU_DEP_1)
	v_cmp_gt_i32_e64 s0, s16, v36
	s_and_b32 s0, s0, s1
	s_delay_alu instid0(SALU_CYCLE_1)
	s_and_b32 exec_lo, exec_lo, s0
	s_cbranch_execz .LBB11_93
; %bb.75:
	v_and_b32_e32 v37, 0x7f800000, v25
	s_delay_alu instid0(VALU_DEP_1) | instskip(NEXT) | instid1(VALU_DEP_1)
	v_cmp_ne_u32_e64 s0, 0x7f800000, v37
                                        ; implicit-def: $vgpr37
	s_and_saveexec_b32 s1, s0
	s_delay_alu instid0(SALU_CYCLE_1)
	s_xor_b32 s0, exec_lo, s1
; %bb.76:
	v_bfe_u32 v37, v25, 16, 1
	s_delay_alu instid0(VALU_DEP_1)
	v_add3_u32 v37, v25, v37, 0x7fff
; %bb.77:
	s_and_not1_saveexec_b32 s1, s0
; %bb.78:
	v_and_b32_e32 v37, 0xffff, v25
	v_or_b32_e32 v38, 0x10000, v25
	s_delay_alu instid0(VALU_DEP_2) | instskip(NEXT) | instid1(VALU_DEP_1)
	v_cmp_eq_u32_e64 s0, 0, v37
	v_cndmask_b32_e64 v37, v38, v25, s0
; %bb.79:
	s_or_b32 exec_lo, exec_lo, s1
	s_waitcnt lgkmcnt(0)
	v_and_b32_e32 v25, 0x7f800000, v35
                                        ; implicit-def: $vgpr40
	s_delay_alu instid0(VALU_DEP_1) | instskip(NEXT) | instid1(VALU_DEP_1)
	v_cmp_ne_u32_e64 s0, 0x7f800000, v25
	s_and_saveexec_b32 s1, s0
	s_delay_alu instid0(SALU_CYCLE_1)
	s_xor_b32 s0, exec_lo, s1
; %bb.80:
	v_bfe_u32 v25, v35, 16, 1
	s_delay_alu instid0(VALU_DEP_1)
	v_add3_u32 v40, v35, v25, 0x7fff
                                        ; implicit-def: $vgpr35
; %bb.81:
	s_and_not1_saveexec_b32 s1, s0
; %bb.82:
	v_and_b32_e32 v25, 0xffff, v35
	v_or_b32_e32 v38, 0x10000, v35
	s_delay_alu instid0(VALU_DEP_2) | instskip(NEXT) | instid1(VALU_DEP_1)
	v_cmp_eq_u32_e64 s0, 0, v25
	v_cndmask_b32_e64 v40, v38, v35, s0
; %bb.83:
	s_or_b32 exec_lo, exec_lo, s1
	v_mul_lo_u32 v35, v36, s17
	v_lshlrev_b64 v[41:42], 1, v[33:34]
	s_delay_alu instid0(VALU_DEP_3) | instskip(SKIP_1) | instid1(VALU_DEP_3)
	v_and_b32_e32 v40, 0xffff0000, v40
	s_mov_b32 s1, 0
	v_ashrrev_i32_e32 v36, 31, v35
	s_delay_alu instid0(VALU_DEP_1) | instskip(NEXT) | instid1(VALU_DEP_1)
	v_lshlrev_b64 v[35:36], 1, v[35:36]
	v_add_co_u32 v25, s0, s2, v35
	s_delay_alu instid0(VALU_DEP_1) | instskip(NEXT) | instid1(VALU_DEP_2)
	v_add_co_ci_u32_e64 v36, s0, s3, v36, s0
	v_add_co_u32 v35, s0, v25, v41
	s_delay_alu instid0(VALU_DEP_1)
	v_add_co_ci_u32_e64 v36, s0, v36, v42, s0
	v_and_b32_e32 v25, 0xffff0000, v37
	global_load_b32 v38, v[35:36], off
	s_branch .LBB11_85
.LBB11_84:                              ;   in Loop: Header=BB11_85 Depth=1
	s_or_b32 exec_lo, exec_lo, s6
	v_lshrrev_b32_e32 v37, 16, v37
	s_delay_alu instid0(VALU_DEP_1) | instskip(SKIP_4) | instid1(VALU_DEP_2)
	v_and_or_b32 v37, 0xffff0000, v42, v37
	global_atomic_cmpswap_b32 v37, v[35:36], v[37:38], off glc
	s_waitcnt vmcnt(0)
	v_cmp_eq_u32_e64 s0, v37, v38
	v_mov_b32_e32 v38, v37
	s_or_b32 s1, s0, s1
	s_delay_alu instid0(SALU_CYCLE_1)
	s_and_not1_b32 exec_lo, exec_lo, s1
	s_cbranch_execz .LBB11_93
.LBB11_85:                              ; =>This Inner Loop Header: Depth=1
	s_waitcnt vmcnt(0)
	v_lshlrev_b32_e32 v37, 16, v38
	s_delay_alu instid0(VALU_DEP_1) | instskip(NEXT) | instid1(VALU_DEP_1)
	v_add_f32_e32 v41, v25, v37
	v_and_b32_e32 v37, 0x7f800000, v41
	s_delay_alu instid0(VALU_DEP_1) | instskip(NEXT) | instid1(VALU_DEP_1)
	v_cmp_ne_u32_e64 s0, 0x7f800000, v37
                                        ; implicit-def: $vgpr37
	s_and_saveexec_b32 s6, s0
	s_delay_alu instid0(SALU_CYCLE_1)
	s_xor_b32 s0, exec_lo, s6
; %bb.86:                               ;   in Loop: Header=BB11_85 Depth=1
	v_bfe_u32 v37, v41, 16, 1
	s_delay_alu instid0(VALU_DEP_1)
	v_add3_u32 v37, v41, v37, 0x7fff
                                        ; implicit-def: $vgpr41
; %bb.87:                               ;   in Loop: Header=BB11_85 Depth=1
	s_and_not1_saveexec_b32 s6, s0
; %bb.88:                               ;   in Loop: Header=BB11_85 Depth=1
	v_and_b32_e32 v37, 0xffff, v41
	v_or_b32_e32 v42, 0x10000, v41
	s_delay_alu instid0(VALU_DEP_2) | instskip(NEXT) | instid1(VALU_DEP_1)
	v_cmp_eq_u32_e64 s0, 0, v37
	v_cndmask_b32_e64 v37, v42, v41, s0
; %bb.89:                               ;   in Loop: Header=BB11_85 Depth=1
	s_or_b32 exec_lo, exec_lo, s6
	v_and_b32_e32 v41, 0xffff0000, v38
	s_delay_alu instid0(VALU_DEP_1) | instskip(NEXT) | instid1(VALU_DEP_1)
	v_add_f32_e32 v41, v40, v41
	v_and_b32_e32 v42, 0x7f800000, v41
	s_delay_alu instid0(VALU_DEP_1) | instskip(NEXT) | instid1(VALU_DEP_1)
	v_cmp_ne_u32_e64 s0, 0x7f800000, v42
                                        ; implicit-def: $vgpr42
	s_and_saveexec_b32 s6, s0
	s_delay_alu instid0(SALU_CYCLE_1)
	s_xor_b32 s0, exec_lo, s6
; %bb.90:                               ;   in Loop: Header=BB11_85 Depth=1
	v_bfe_u32 v42, v41, 16, 1
	s_delay_alu instid0(VALU_DEP_1)
	v_add3_u32 v42, v41, v42, 0x7fff
                                        ; implicit-def: $vgpr41
; %bb.91:                               ;   in Loop: Header=BB11_85 Depth=1
	s_and_not1_saveexec_b32 s6, s0
	s_cbranch_execz .LBB11_84
; %bb.92:                               ;   in Loop: Header=BB11_85 Depth=1
	v_and_b32_e32 v42, 0xffff, v41
	v_or_b32_e32 v43, 0x10000, v41
	s_delay_alu instid0(VALU_DEP_2) | instskip(NEXT) | instid1(VALU_DEP_1)
	v_cmp_eq_u32_e64 s0, 0, v42
	v_cndmask_b32_e64 v42, v43, v41, s0
	s_branch .LBB11_84
.LBB11_93:
	s_or_b32 exec_lo, exec_lo, s5
	s_waitcnt lgkmcnt(0)
	ds_bpermute_b32 v35, v39, v26
	s_and_saveexec_b32 s5, vcc_lo
	s_cbranch_execz .LBB11_113
; %bb.94:
	v_or3_b32 v25, v54, v55, 2
	v_cmp_gt_i32_e64 s1, s17, v33
	s_delay_alu instid0(VALU_DEP_2) | instskip(NEXT) | instid1(VALU_DEP_1)
	v_cmp_gt_i32_e64 s0, s16, v25
	s_and_b32 s0, s0, s1
	s_delay_alu instid0(SALU_CYCLE_1)
	s_and_b32 exec_lo, exec_lo, s0
	s_cbranch_execz .LBB11_113
; %bb.95:
	v_and_b32_e32 v36, 0x7f800000, v26
                                        ; implicit-def: $vgpr37
	s_delay_alu instid0(VALU_DEP_1) | instskip(NEXT) | instid1(VALU_DEP_1)
	v_cmp_ne_u32_e64 s0, 0x7f800000, v36
	s_and_saveexec_b32 s1, s0
	s_delay_alu instid0(SALU_CYCLE_1)
	s_xor_b32 s0, exec_lo, s1
; %bb.96:
	v_bfe_u32 v36, v26, 16, 1
	s_delay_alu instid0(VALU_DEP_1)
	v_add3_u32 v37, v26, v36, 0x7fff
; %bb.97:
	s_and_not1_saveexec_b32 s1, s0
; %bb.98:
	v_and_b32_e32 v36, 0xffff, v26
	v_or_b32_e32 v37, 0x10000, v26
	s_delay_alu instid0(VALU_DEP_2) | instskip(NEXT) | instid1(VALU_DEP_1)
	v_cmp_eq_u32_e64 s0, 0, v36
	v_cndmask_b32_e64 v37, v37, v26, s0
; %bb.99:
	s_or_b32 exec_lo, exec_lo, s1
	s_waitcnt lgkmcnt(0)
	v_and_b32_e32 v26, 0x7f800000, v35
                                        ; implicit-def: $vgpr38
	s_delay_alu instid0(VALU_DEP_1) | instskip(NEXT) | instid1(VALU_DEP_1)
	v_cmp_ne_u32_e64 s0, 0x7f800000, v26
	s_and_saveexec_b32 s1, s0
	s_delay_alu instid0(SALU_CYCLE_1)
	s_xor_b32 s0, exec_lo, s1
; %bb.100:
	v_bfe_u32 v26, v35, 16, 1
	s_delay_alu instid0(VALU_DEP_1)
	v_add3_u32 v38, v35, v26, 0x7fff
                                        ; implicit-def: $vgpr35
; %bb.101:
	s_and_not1_saveexec_b32 s1, s0
; %bb.102:
	v_and_b32_e32 v26, 0xffff, v35
	v_or_b32_e32 v36, 0x10000, v35
	s_delay_alu instid0(VALU_DEP_2) | instskip(NEXT) | instid1(VALU_DEP_1)
	v_cmp_eq_u32_e64 s0, 0, v26
	v_cndmask_b32_e64 v38, v36, v35, s0
; %bb.103:
	s_or_b32 exec_lo, exec_lo, s1
	v_mul_lo_u32 v25, v25, s17
	v_lshlrev_b64 v[35:36], 1, v[33:34]
	v_and_b32_e32 v37, 0xffff0000, v37
	v_and_b32_e32 v38, 0xffff0000, v38
	s_mov_b32 s1, 0
	s_delay_alu instid0(VALU_DEP_4) | instskip(NEXT) | instid1(VALU_DEP_1)
	v_ashrrev_i32_e32 v26, 31, v25
	v_lshlrev_b64 v[25:26], 1, v[25:26]
	s_delay_alu instid0(VALU_DEP_1) | instskip(NEXT) | instid1(VALU_DEP_1)
	v_add_co_u32 v25, s0, s2, v25
	v_add_co_ci_u32_e64 v26, s0, s3, v26, s0
	s_delay_alu instid0(VALU_DEP_2) | instskip(NEXT) | instid1(VALU_DEP_1)
	v_add_co_u32 v25, s0, v25, v35
	v_add_co_ci_u32_e64 v26, s0, v26, v36, s0
	global_load_b32 v36, v[25:26], off
	s_branch .LBB11_105
.LBB11_104:                             ;   in Loop: Header=BB11_105 Depth=1
	s_or_b32 exec_lo, exec_lo, s6
	v_lshrrev_b32_e32 v35, 16, v35
	s_delay_alu instid0(VALU_DEP_1) | instskip(SKIP_4) | instid1(VALU_DEP_2)
	v_and_or_b32 v35, 0xffff0000, v41, v35
	global_atomic_cmpswap_b32 v35, v[25:26], v[35:36], off glc
	s_waitcnt vmcnt(0)
	v_cmp_eq_u32_e64 s0, v35, v36
	v_mov_b32_e32 v36, v35
	s_or_b32 s1, s0, s1
	s_delay_alu instid0(SALU_CYCLE_1)
	s_and_not1_b32 exec_lo, exec_lo, s1
	s_cbranch_execz .LBB11_113
.LBB11_105:                             ; =>This Inner Loop Header: Depth=1
	s_waitcnt vmcnt(0)
	v_lshlrev_b32_e32 v35, 16, v36
	s_delay_alu instid0(VALU_DEP_1) | instskip(NEXT) | instid1(VALU_DEP_1)
	v_add_f32_e32 v40, v37, v35
	v_and_b32_e32 v35, 0x7f800000, v40
	s_delay_alu instid0(VALU_DEP_1) | instskip(NEXT) | instid1(VALU_DEP_1)
	v_cmp_ne_u32_e64 s0, 0x7f800000, v35
                                        ; implicit-def: $vgpr35
	s_and_saveexec_b32 s6, s0
	s_delay_alu instid0(SALU_CYCLE_1)
	s_xor_b32 s0, exec_lo, s6
; %bb.106:                              ;   in Loop: Header=BB11_105 Depth=1
	v_bfe_u32 v35, v40, 16, 1
	s_delay_alu instid0(VALU_DEP_1)
	v_add3_u32 v35, v40, v35, 0x7fff
                                        ; implicit-def: $vgpr40
; %bb.107:                              ;   in Loop: Header=BB11_105 Depth=1
	s_and_not1_saveexec_b32 s6, s0
; %bb.108:                              ;   in Loop: Header=BB11_105 Depth=1
	v_and_b32_e32 v35, 0xffff, v40
	v_or_b32_e32 v41, 0x10000, v40
	s_delay_alu instid0(VALU_DEP_2) | instskip(NEXT) | instid1(VALU_DEP_1)
	v_cmp_eq_u32_e64 s0, 0, v35
	v_cndmask_b32_e64 v35, v41, v40, s0
; %bb.109:                              ;   in Loop: Header=BB11_105 Depth=1
	s_or_b32 exec_lo, exec_lo, s6
	v_and_b32_e32 v40, 0xffff0000, v36
	s_delay_alu instid0(VALU_DEP_1) | instskip(NEXT) | instid1(VALU_DEP_1)
	v_add_f32_e32 v40, v38, v40
	v_and_b32_e32 v41, 0x7f800000, v40
	s_delay_alu instid0(VALU_DEP_1) | instskip(NEXT) | instid1(VALU_DEP_1)
	v_cmp_ne_u32_e64 s0, 0x7f800000, v41
                                        ; implicit-def: $vgpr41
	s_and_saveexec_b32 s6, s0
	s_delay_alu instid0(SALU_CYCLE_1)
	s_xor_b32 s0, exec_lo, s6
; %bb.110:                              ;   in Loop: Header=BB11_105 Depth=1
	v_bfe_u32 v41, v40, 16, 1
	s_delay_alu instid0(VALU_DEP_1)
	v_add3_u32 v41, v40, v41, 0x7fff
                                        ; implicit-def: $vgpr40
; %bb.111:                              ;   in Loop: Header=BB11_105 Depth=1
	s_and_not1_saveexec_b32 s6, s0
	s_cbranch_execz .LBB11_104
; %bb.112:                              ;   in Loop: Header=BB11_105 Depth=1
	v_and_b32_e32 v41, 0xffff, v40
	v_or_b32_e32 v42, 0x10000, v40
	s_delay_alu instid0(VALU_DEP_2) | instskip(NEXT) | instid1(VALU_DEP_1)
	v_cmp_eq_u32_e64 s0, 0, v41
	v_cndmask_b32_e64 v41, v42, v40, s0
	s_branch .LBB11_104
.LBB11_113:
	s_or_b32 exec_lo, exec_lo, s5
	ds_bpermute_b32 v26, v39, v27
	s_and_saveexec_b32 s5, vcc_lo
	s_cbranch_execz .LBB11_133
; %bb.114:
	v_or3_b32 v25, v54, v55, 4
	v_cmp_gt_i32_e64 s1, s17, v33
	s_delay_alu instid0(VALU_DEP_2) | instskip(NEXT) | instid1(VALU_DEP_1)
	v_cmp_gt_i32_e64 s0, s16, v25
	s_and_b32 s0, s0, s1
	s_delay_alu instid0(SALU_CYCLE_1)
	s_and_b32 exec_lo, exec_lo, s0
	s_cbranch_execz .LBB11_133
; %bb.115:
	s_waitcnt lgkmcnt(1)
	v_and_b32_e32 v35, 0x7f800000, v27
	s_delay_alu instid0(VALU_DEP_1) | instskip(NEXT) | instid1(VALU_DEP_1)
	v_cmp_ne_u32_e64 s0, 0x7f800000, v35
                                        ; implicit-def: $vgpr35
	s_and_saveexec_b32 s1, s0
	s_delay_alu instid0(SALU_CYCLE_1)
	s_xor_b32 s0, exec_lo, s1
; %bb.116:
	v_bfe_u32 v35, v27, 16, 1
	s_delay_alu instid0(VALU_DEP_1)
	v_add3_u32 v35, v27, v35, 0x7fff
; %bb.117:
	s_and_not1_saveexec_b32 s1, s0
; %bb.118:
	v_and_b32_e32 v35, 0xffff, v27
	v_or_b32_e32 v36, 0x10000, v27
	s_delay_alu instid0(VALU_DEP_2) | instskip(NEXT) | instid1(VALU_DEP_1)
	v_cmp_eq_u32_e64 s0, 0, v35
	v_cndmask_b32_e64 v35, v36, v27, s0
; %bb.119:
	s_or_b32 exec_lo, exec_lo, s1
	s_waitcnt lgkmcnt(0)
	v_and_b32_e32 v27, 0x7f800000, v26
                                        ; implicit-def: $vgpr37
	s_delay_alu instid0(VALU_DEP_1) | instskip(NEXT) | instid1(VALU_DEP_1)
	v_cmp_ne_u32_e64 s0, 0x7f800000, v27
	s_and_saveexec_b32 s1, s0
	s_delay_alu instid0(SALU_CYCLE_1)
	s_xor_b32 s0, exec_lo, s1
; %bb.120:
	v_bfe_u32 v27, v26, 16, 1
	s_delay_alu instid0(VALU_DEP_1)
	v_add3_u32 v37, v26, v27, 0x7fff
                                        ; implicit-def: $vgpr26
; %bb.121:
	s_and_not1_saveexec_b32 s1, s0
; %bb.122:
	v_and_b32_e32 v27, 0xffff, v26
	v_or_b32_e32 v36, 0x10000, v26
	s_delay_alu instid0(VALU_DEP_2) | instskip(NEXT) | instid1(VALU_DEP_1)
	v_cmp_eq_u32_e64 s0, 0, v27
	v_cndmask_b32_e64 v37, v36, v26, s0
; %bb.123:
	s_or_b32 exec_lo, exec_lo, s1
	v_mul_lo_u32 v25, v25, s17
	v_lshlrev_b64 v[40:41], 1, v[33:34]
	v_and_b32_e32 v27, 0xffff0000, v35
	v_and_b32_e32 v37, 0xffff0000, v37
	s_mov_b32 s1, 0
	s_delay_alu instid0(VALU_DEP_4) | instskip(NEXT) | instid1(VALU_DEP_1)
	v_ashrrev_i32_e32 v26, 31, v25
	v_lshlrev_b64 v[25:26], 1, v[25:26]
	s_delay_alu instid0(VALU_DEP_1) | instskip(NEXT) | instid1(VALU_DEP_1)
	v_add_co_u32 v25, s0, s2, v25
	v_add_co_ci_u32_e64 v26, s0, s3, v26, s0
	s_delay_alu instid0(VALU_DEP_2) | instskip(NEXT) | instid1(VALU_DEP_1)
	v_add_co_u32 v25, s0, v25, v40
	v_add_co_ci_u32_e64 v26, s0, v26, v41, s0
	global_load_b32 v36, v[25:26], off
	s_branch .LBB11_125
.LBB11_124:                             ;   in Loop: Header=BB11_125 Depth=1
	s_or_b32 exec_lo, exec_lo, s6
	v_lshrrev_b32_e32 v35, 16, v35
	s_delay_alu instid0(VALU_DEP_1) | instskip(SKIP_4) | instid1(VALU_DEP_2)
	v_and_or_b32 v35, 0xffff0000, v40, v35
	global_atomic_cmpswap_b32 v35, v[25:26], v[35:36], off glc
	s_waitcnt vmcnt(0)
	v_cmp_eq_u32_e64 s0, v35, v36
	v_mov_b32_e32 v36, v35
	s_or_b32 s1, s0, s1
	s_delay_alu instid0(SALU_CYCLE_1)
	s_and_not1_b32 exec_lo, exec_lo, s1
	s_cbranch_execz .LBB11_133
.LBB11_125:                             ; =>This Inner Loop Header: Depth=1
	s_waitcnt vmcnt(0)
	v_lshlrev_b32_e32 v35, 16, v36
	s_delay_alu instid0(VALU_DEP_1) | instskip(NEXT) | instid1(VALU_DEP_1)
	v_add_f32_e32 v38, v27, v35
	v_and_b32_e32 v35, 0x7f800000, v38
	s_delay_alu instid0(VALU_DEP_1) | instskip(NEXT) | instid1(VALU_DEP_1)
	v_cmp_ne_u32_e64 s0, 0x7f800000, v35
                                        ; implicit-def: $vgpr35
	s_and_saveexec_b32 s6, s0
	s_delay_alu instid0(SALU_CYCLE_1)
	s_xor_b32 s0, exec_lo, s6
; %bb.126:                              ;   in Loop: Header=BB11_125 Depth=1
	v_bfe_u32 v35, v38, 16, 1
	s_delay_alu instid0(VALU_DEP_1)
	v_add3_u32 v35, v38, v35, 0x7fff
                                        ; implicit-def: $vgpr38
; %bb.127:                              ;   in Loop: Header=BB11_125 Depth=1
	s_and_not1_saveexec_b32 s6, s0
; %bb.128:                              ;   in Loop: Header=BB11_125 Depth=1
	v_and_b32_e32 v35, 0xffff, v38
	v_or_b32_e32 v40, 0x10000, v38
	s_delay_alu instid0(VALU_DEP_2) | instskip(NEXT) | instid1(VALU_DEP_1)
	v_cmp_eq_u32_e64 s0, 0, v35
	v_cndmask_b32_e64 v35, v40, v38, s0
; %bb.129:                              ;   in Loop: Header=BB11_125 Depth=1
	s_or_b32 exec_lo, exec_lo, s6
	v_and_b32_e32 v38, 0xffff0000, v36
	s_delay_alu instid0(VALU_DEP_1) | instskip(NEXT) | instid1(VALU_DEP_1)
	v_add_f32_e32 v38, v37, v38
	v_and_b32_e32 v40, 0x7f800000, v38
	s_delay_alu instid0(VALU_DEP_1) | instskip(NEXT) | instid1(VALU_DEP_1)
	v_cmp_ne_u32_e64 s0, 0x7f800000, v40
                                        ; implicit-def: $vgpr40
	s_and_saveexec_b32 s6, s0
	s_delay_alu instid0(SALU_CYCLE_1)
	s_xor_b32 s0, exec_lo, s6
; %bb.130:                              ;   in Loop: Header=BB11_125 Depth=1
	v_bfe_u32 v40, v38, 16, 1
	s_delay_alu instid0(VALU_DEP_1)
	v_add3_u32 v40, v38, v40, 0x7fff
                                        ; implicit-def: $vgpr38
; %bb.131:                              ;   in Loop: Header=BB11_125 Depth=1
	s_and_not1_saveexec_b32 s6, s0
	s_cbranch_execz .LBB11_124
; %bb.132:                              ;   in Loop: Header=BB11_125 Depth=1
	v_and_b32_e32 v40, 0xffff, v38
	v_or_b32_e32 v41, 0x10000, v38
	s_delay_alu instid0(VALU_DEP_2) | instskip(NEXT) | instid1(VALU_DEP_1)
	v_cmp_eq_u32_e64 s0, 0, v40
	v_cndmask_b32_e64 v40, v41, v38, s0
	s_branch .LBB11_124
.LBB11_133:
	s_or_b32 exec_lo, exec_lo, s5
	s_waitcnt lgkmcnt(0)
	ds_bpermute_b32 v26, v39, v28
	s_and_saveexec_b32 s5, vcc_lo
	s_cbranch_execz .LBB11_153
; %bb.134:
	v_or3_b32 v25, v54, v55, 6
	v_cmp_gt_i32_e64 s1, s17, v33
	s_delay_alu instid0(VALU_DEP_2) | instskip(NEXT) | instid1(VALU_DEP_1)
	v_cmp_gt_i32_e64 s0, s16, v25
	s_and_b32 s0, s0, s1
	s_delay_alu instid0(SALU_CYCLE_1)
	s_and_b32 exec_lo, exec_lo, s0
	s_cbranch_execz .LBB11_153
; %bb.135:
	v_and_b32_e32 v27, 0x7f800000, v28
	s_delay_alu instid0(VALU_DEP_1) | instskip(NEXT) | instid1(VALU_DEP_1)
	v_cmp_ne_u32_e64 s0, 0x7f800000, v27
                                        ; implicit-def: $vgpr27
	s_and_saveexec_b32 s1, s0
	s_delay_alu instid0(SALU_CYCLE_1)
	s_xor_b32 s0, exec_lo, s1
; %bb.136:
	v_bfe_u32 v27, v28, 16, 1
	s_delay_alu instid0(VALU_DEP_1)
	v_add3_u32 v27, v28, v27, 0x7fff
; %bb.137:
	s_and_not1_saveexec_b32 s1, s0
; %bb.138:
	v_and_b32_e32 v27, 0xffff, v28
	v_or_b32_e32 v35, 0x10000, v28
	s_delay_alu instid0(VALU_DEP_2) | instskip(NEXT) | instid1(VALU_DEP_1)
	v_cmp_eq_u32_e64 s0, 0, v27
	v_cndmask_b32_e64 v27, v35, v28, s0
; %bb.139:
	s_or_b32 exec_lo, exec_lo, s1
	s_waitcnt lgkmcnt(0)
	v_and_b32_e32 v28, 0x7f800000, v26
                                        ; implicit-def: $vgpr36
	s_delay_alu instid0(VALU_DEP_1) | instskip(NEXT) | instid1(VALU_DEP_1)
	v_cmp_ne_u32_e64 s0, 0x7f800000, v28
	s_and_saveexec_b32 s1, s0
	s_delay_alu instid0(SALU_CYCLE_1)
	s_xor_b32 s0, exec_lo, s1
; %bb.140:
	v_bfe_u32 v28, v26, 16, 1
	s_delay_alu instid0(VALU_DEP_1)
	v_add3_u32 v36, v26, v28, 0x7fff
                                        ; implicit-def: $vgpr26
; %bb.141:
	s_and_not1_saveexec_b32 s1, s0
; %bb.142:
	v_and_b32_e32 v28, 0xffff, v26
	v_or_b32_e32 v35, 0x10000, v26
	s_delay_alu instid0(VALU_DEP_2) | instskip(NEXT) | instid1(VALU_DEP_1)
	v_cmp_eq_u32_e64 s0, 0, v28
	v_cndmask_b32_e64 v36, v35, v26, s0
; %bb.143:
	s_or_b32 exec_lo, exec_lo, s1
	v_mul_lo_u32 v25, v25, s17
	v_lshlrev_b64 v[37:38], 1, v[33:34]
	v_and_b32_e32 v35, 0xffff0000, v27
	v_and_b32_e32 v36, 0xffff0000, v36
	s_mov_b32 s1, 0
	s_delay_alu instid0(VALU_DEP_4) | instskip(NEXT) | instid1(VALU_DEP_1)
	v_ashrrev_i32_e32 v26, 31, v25
	v_lshlrev_b64 v[25:26], 1, v[25:26]
	s_delay_alu instid0(VALU_DEP_1) | instskip(NEXT) | instid1(VALU_DEP_1)
	v_add_co_u32 v25, s0, s2, v25
	v_add_co_ci_u32_e64 v26, s0, s3, v26, s0
	s_delay_alu instid0(VALU_DEP_2) | instskip(NEXT) | instid1(VALU_DEP_1)
	v_add_co_u32 v25, s0, v25, v37
	v_add_co_ci_u32_e64 v26, s0, v26, v38, s0
	global_load_b32 v28, v[25:26], off
	s_branch .LBB11_145
.LBB11_144:                             ;   in Loop: Header=BB11_145 Depth=1
	s_or_b32 exec_lo, exec_lo, s6
	v_lshrrev_b32_e32 v27, 16, v27
	s_delay_alu instid0(VALU_DEP_1) | instskip(SKIP_4) | instid1(VALU_DEP_2)
	v_and_or_b32 v27, 0xffff0000, v38, v27
	global_atomic_cmpswap_b32 v27, v[25:26], v[27:28], off glc
	s_waitcnt vmcnt(0)
	v_cmp_eq_u32_e64 s0, v27, v28
	v_mov_b32_e32 v28, v27
	s_or_b32 s1, s0, s1
	s_delay_alu instid0(SALU_CYCLE_1)
	s_and_not1_b32 exec_lo, exec_lo, s1
	s_cbranch_execz .LBB11_153
.LBB11_145:                             ; =>This Inner Loop Header: Depth=1
	s_waitcnt vmcnt(0)
	v_lshlrev_b32_e32 v27, 16, v28
	s_delay_alu instid0(VALU_DEP_1) | instskip(NEXT) | instid1(VALU_DEP_1)
	v_add_f32_e32 v37, v35, v27
	v_and_b32_e32 v27, 0x7f800000, v37
	s_delay_alu instid0(VALU_DEP_1) | instskip(NEXT) | instid1(VALU_DEP_1)
	v_cmp_ne_u32_e64 s0, 0x7f800000, v27
                                        ; implicit-def: $vgpr27
	s_and_saveexec_b32 s6, s0
	s_delay_alu instid0(SALU_CYCLE_1)
	s_xor_b32 s0, exec_lo, s6
; %bb.146:                              ;   in Loop: Header=BB11_145 Depth=1
	v_bfe_u32 v27, v37, 16, 1
	s_delay_alu instid0(VALU_DEP_1)
	v_add3_u32 v27, v37, v27, 0x7fff
                                        ; implicit-def: $vgpr37
; %bb.147:                              ;   in Loop: Header=BB11_145 Depth=1
	s_and_not1_saveexec_b32 s6, s0
; %bb.148:                              ;   in Loop: Header=BB11_145 Depth=1
	v_and_b32_e32 v27, 0xffff, v37
	v_or_b32_e32 v38, 0x10000, v37
	s_delay_alu instid0(VALU_DEP_2) | instskip(NEXT) | instid1(VALU_DEP_1)
	v_cmp_eq_u32_e64 s0, 0, v27
	v_cndmask_b32_e64 v27, v38, v37, s0
; %bb.149:                              ;   in Loop: Header=BB11_145 Depth=1
	s_or_b32 exec_lo, exec_lo, s6
	v_and_b32_e32 v37, 0xffff0000, v28
	s_delay_alu instid0(VALU_DEP_1) | instskip(NEXT) | instid1(VALU_DEP_1)
	v_add_f32_e32 v37, v36, v37
	v_and_b32_e32 v38, 0x7f800000, v37
	s_delay_alu instid0(VALU_DEP_1) | instskip(NEXT) | instid1(VALU_DEP_1)
	v_cmp_ne_u32_e64 s0, 0x7f800000, v38
                                        ; implicit-def: $vgpr38
	s_and_saveexec_b32 s6, s0
	s_delay_alu instid0(SALU_CYCLE_1)
	s_xor_b32 s0, exec_lo, s6
; %bb.150:                              ;   in Loop: Header=BB11_145 Depth=1
	v_bfe_u32 v38, v37, 16, 1
	s_delay_alu instid0(VALU_DEP_1)
	v_add3_u32 v38, v37, v38, 0x7fff
                                        ; implicit-def: $vgpr37
; %bb.151:                              ;   in Loop: Header=BB11_145 Depth=1
	s_and_not1_saveexec_b32 s6, s0
	s_cbranch_execz .LBB11_144
; %bb.152:                              ;   in Loop: Header=BB11_145 Depth=1
	v_and_b32_e32 v38, 0xffff, v37
	v_or_b32_e32 v40, 0x10000, v37
	s_delay_alu instid0(VALU_DEP_2) | instskip(NEXT) | instid1(VALU_DEP_1)
	v_cmp_eq_u32_e64 s0, 0, v38
	v_cndmask_b32_e64 v38, v40, v37, s0
	s_branch .LBB11_144
.LBB11_153:
	s_or_b32 exec_lo, exec_lo, s5
	s_waitcnt lgkmcnt(0)
	ds_bpermute_b32 v26, v39, v29
	s_and_saveexec_b32 s5, vcc_lo
	s_cbranch_execz .LBB11_173
; %bb.154:
	v_or3_b32 v25, v54, v55, 8
	v_cmp_gt_i32_e64 s1, s17, v33
	s_delay_alu instid0(VALU_DEP_2) | instskip(NEXT) | instid1(VALU_DEP_1)
	v_cmp_gt_i32_e64 s0, s16, v25
	s_and_b32 s0, s0, s1
	s_delay_alu instid0(SALU_CYCLE_1)
	s_and_b32 exec_lo, exec_lo, s0
	s_cbranch_execz .LBB11_173
; %bb.155:
	v_and_b32_e32 v27, 0x7f800000, v29
	s_delay_alu instid0(VALU_DEP_1) | instskip(NEXT) | instid1(VALU_DEP_1)
	v_cmp_ne_u32_e64 s0, 0x7f800000, v27
                                        ; implicit-def: $vgpr27
	s_and_saveexec_b32 s1, s0
	s_delay_alu instid0(SALU_CYCLE_1)
	s_xor_b32 s0, exec_lo, s1
; %bb.156:
	v_bfe_u32 v27, v29, 16, 1
	s_delay_alu instid0(VALU_DEP_1)
	v_add3_u32 v27, v29, v27, 0x7fff
; %bb.157:
	s_and_not1_saveexec_b32 s1, s0
; %bb.158:
	v_and_b32_e32 v27, 0xffff, v29
	v_or_b32_e32 v28, 0x10000, v29
	s_delay_alu instid0(VALU_DEP_2) | instskip(NEXT) | instid1(VALU_DEP_1)
	v_cmp_eq_u32_e64 s0, 0, v27
	v_cndmask_b32_e64 v27, v28, v29, s0
; %bb.159:
	s_or_b32 exec_lo, exec_lo, s1
	s_waitcnt lgkmcnt(0)
	v_and_b32_e32 v28, 0x7f800000, v26
                                        ; implicit-def: $vgpr35
	s_delay_alu instid0(VALU_DEP_1) | instskip(NEXT) | instid1(VALU_DEP_1)
	v_cmp_ne_u32_e64 s0, 0x7f800000, v28
	s_and_saveexec_b32 s1, s0
	s_delay_alu instid0(SALU_CYCLE_1)
	s_xor_b32 s0, exec_lo, s1
; %bb.160:
	v_bfe_u32 v28, v26, 16, 1
	s_delay_alu instid0(VALU_DEP_1)
	v_add3_u32 v35, v26, v28, 0x7fff
                                        ; implicit-def: $vgpr26
; %bb.161:
	s_and_not1_saveexec_b32 s1, s0
; %bb.162:
	v_and_b32_e32 v28, 0xffff, v26
	v_or_b32_e32 v29, 0x10000, v26
	s_delay_alu instid0(VALU_DEP_2) | instskip(NEXT) | instid1(VALU_DEP_1)
	v_cmp_eq_u32_e64 s0, 0, v28
	v_cndmask_b32_e64 v35, v29, v26, s0
; %bb.163:
	s_or_b32 exec_lo, exec_lo, s1
	v_mul_lo_u32 v25, v25, s17
	v_lshlrev_b64 v[28:29], 1, v[33:34]
	s_delay_alu instid0(VALU_DEP_3) | instskip(SKIP_1) | instid1(VALU_DEP_3)
	v_and_b32_e32 v35, 0xffff0000, v35
	s_mov_b32 s1, 0
	v_ashrrev_i32_e32 v26, 31, v25
	s_delay_alu instid0(VALU_DEP_1) | instskip(NEXT) | instid1(VALU_DEP_1)
	v_lshlrev_b64 v[25:26], 1, v[25:26]
	v_add_co_u32 v25, s0, s2, v25
	s_delay_alu instid0(VALU_DEP_1) | instskip(NEXT) | instid1(VALU_DEP_2)
	v_add_co_ci_u32_e64 v26, s0, s3, v26, s0
	v_add_co_u32 v25, s0, v25, v28
	s_delay_alu instid0(VALU_DEP_1)
	v_add_co_ci_u32_e64 v26, s0, v26, v29, s0
	v_and_b32_e32 v29, 0xffff0000, v27
	global_load_b32 v28, v[25:26], off
	s_branch .LBB11_165
.LBB11_164:                             ;   in Loop: Header=BB11_165 Depth=1
	s_or_b32 exec_lo, exec_lo, s6
	v_lshrrev_b32_e32 v27, 16, v27
	s_delay_alu instid0(VALU_DEP_1) | instskip(SKIP_4) | instid1(VALU_DEP_2)
	v_and_or_b32 v27, 0xffff0000, v37, v27
	global_atomic_cmpswap_b32 v27, v[25:26], v[27:28], off glc
	s_waitcnt vmcnt(0)
	v_cmp_eq_u32_e64 s0, v27, v28
	v_mov_b32_e32 v28, v27
	s_or_b32 s1, s0, s1
	s_delay_alu instid0(SALU_CYCLE_1)
	s_and_not1_b32 exec_lo, exec_lo, s1
	s_cbranch_execz .LBB11_173
.LBB11_165:                             ; =>This Inner Loop Header: Depth=1
	s_waitcnt vmcnt(0)
	v_lshlrev_b32_e32 v27, 16, v28
	s_delay_alu instid0(VALU_DEP_1) | instskip(NEXT) | instid1(VALU_DEP_1)
	v_add_f32_e32 v36, v29, v27
	v_and_b32_e32 v27, 0x7f800000, v36
	s_delay_alu instid0(VALU_DEP_1) | instskip(NEXT) | instid1(VALU_DEP_1)
	v_cmp_ne_u32_e64 s0, 0x7f800000, v27
                                        ; implicit-def: $vgpr27
	s_and_saveexec_b32 s6, s0
	s_delay_alu instid0(SALU_CYCLE_1)
	s_xor_b32 s0, exec_lo, s6
; %bb.166:                              ;   in Loop: Header=BB11_165 Depth=1
	v_bfe_u32 v27, v36, 16, 1
	s_delay_alu instid0(VALU_DEP_1)
	v_add3_u32 v27, v36, v27, 0x7fff
                                        ; implicit-def: $vgpr36
; %bb.167:                              ;   in Loop: Header=BB11_165 Depth=1
	s_and_not1_saveexec_b32 s6, s0
; %bb.168:                              ;   in Loop: Header=BB11_165 Depth=1
	v_and_b32_e32 v27, 0xffff, v36
	v_or_b32_e32 v37, 0x10000, v36
	s_delay_alu instid0(VALU_DEP_2) | instskip(NEXT) | instid1(VALU_DEP_1)
	v_cmp_eq_u32_e64 s0, 0, v27
	v_cndmask_b32_e64 v27, v37, v36, s0
; %bb.169:                              ;   in Loop: Header=BB11_165 Depth=1
	s_or_b32 exec_lo, exec_lo, s6
	v_and_b32_e32 v36, 0xffff0000, v28
	s_delay_alu instid0(VALU_DEP_1) | instskip(NEXT) | instid1(VALU_DEP_1)
	v_add_f32_e32 v36, v35, v36
	v_and_b32_e32 v37, 0x7f800000, v36
	s_delay_alu instid0(VALU_DEP_1) | instskip(NEXT) | instid1(VALU_DEP_1)
	v_cmp_ne_u32_e64 s0, 0x7f800000, v37
                                        ; implicit-def: $vgpr37
	s_and_saveexec_b32 s6, s0
	s_delay_alu instid0(SALU_CYCLE_1)
	s_xor_b32 s0, exec_lo, s6
; %bb.170:                              ;   in Loop: Header=BB11_165 Depth=1
	v_bfe_u32 v37, v36, 16, 1
	s_delay_alu instid0(VALU_DEP_1)
	v_add3_u32 v37, v36, v37, 0x7fff
                                        ; implicit-def: $vgpr36
; %bb.171:                              ;   in Loop: Header=BB11_165 Depth=1
	s_and_not1_saveexec_b32 s6, s0
	s_cbranch_execz .LBB11_164
; %bb.172:                              ;   in Loop: Header=BB11_165 Depth=1
	v_and_b32_e32 v37, 0xffff, v36
	v_or_b32_e32 v38, 0x10000, v36
	s_delay_alu instid0(VALU_DEP_2) | instskip(NEXT) | instid1(VALU_DEP_1)
	v_cmp_eq_u32_e64 s0, 0, v37
	v_cndmask_b32_e64 v37, v38, v36, s0
	s_branch .LBB11_164
.LBB11_173:
	s_or_b32 exec_lo, exec_lo, s5
	s_waitcnt lgkmcnt(0)
	ds_bpermute_b32 v26, v39, v30
	s_and_saveexec_b32 s5, vcc_lo
	s_cbranch_execz .LBB11_193
; %bb.174:
	v_or3_b32 v25, v54, v55, 10
	v_cmp_gt_i32_e64 s1, s17, v33
	s_delay_alu instid0(VALU_DEP_2) | instskip(NEXT) | instid1(VALU_DEP_1)
	v_cmp_gt_i32_e64 s0, s16, v25
	s_and_b32 s0, s0, s1
	s_delay_alu instid0(SALU_CYCLE_1)
	s_and_b32 exec_lo, exec_lo, s0
	s_cbranch_execz .LBB11_193
; %bb.175:
	v_and_b32_e32 v27, 0x7f800000, v30
	s_delay_alu instid0(VALU_DEP_1) | instskip(NEXT) | instid1(VALU_DEP_1)
	v_cmp_ne_u32_e64 s0, 0x7f800000, v27
                                        ; implicit-def: $vgpr27
	s_and_saveexec_b32 s1, s0
	s_delay_alu instid0(SALU_CYCLE_1)
	s_xor_b32 s0, exec_lo, s1
; %bb.176:
	v_bfe_u32 v27, v30, 16, 1
	s_delay_alu instid0(VALU_DEP_1)
	v_add3_u32 v27, v30, v27, 0x7fff
; %bb.177:
	s_and_not1_saveexec_b32 s1, s0
; %bb.178:
	v_and_b32_e32 v27, 0xffff, v30
	v_or_b32_e32 v28, 0x10000, v30
	s_delay_alu instid0(VALU_DEP_2) | instskip(NEXT) | instid1(VALU_DEP_1)
	v_cmp_eq_u32_e64 s0, 0, v27
	v_cndmask_b32_e64 v27, v28, v30, s0
; %bb.179:
	s_or_b32 exec_lo, exec_lo, s1
	s_waitcnt lgkmcnt(0)
	v_and_b32_e32 v28, 0x7f800000, v26
                                        ; implicit-def: $vgpr30
	s_delay_alu instid0(VALU_DEP_1) | instskip(NEXT) | instid1(VALU_DEP_1)
	v_cmp_ne_u32_e64 s0, 0x7f800000, v28
	s_and_saveexec_b32 s1, s0
	s_delay_alu instid0(SALU_CYCLE_1)
	s_xor_b32 s0, exec_lo, s1
; %bb.180:
	v_bfe_u32 v28, v26, 16, 1
	s_delay_alu instid0(VALU_DEP_1)
	v_add3_u32 v30, v26, v28, 0x7fff
                                        ; implicit-def: $vgpr26
; %bb.181:
	s_and_not1_saveexec_b32 s1, s0
; %bb.182:
	v_and_b32_e32 v28, 0xffff, v26
	v_or_b32_e32 v29, 0x10000, v26
	s_delay_alu instid0(VALU_DEP_2) | instskip(NEXT) | instid1(VALU_DEP_1)
	v_cmp_eq_u32_e64 s0, 0, v28
	v_cndmask_b32_e64 v30, v29, v26, s0
; %bb.183:
	s_or_b32 exec_lo, exec_lo, s1
	v_mul_lo_u32 v25, v25, s17
	v_lshlrev_b64 v[28:29], 1, v[33:34]
	s_delay_alu instid0(VALU_DEP_3) | instskip(SKIP_1) | instid1(VALU_DEP_3)
	v_and_b32_e32 v30, 0xffff0000, v30
	s_mov_b32 s1, 0
	v_ashrrev_i32_e32 v26, 31, v25
	s_delay_alu instid0(VALU_DEP_1) | instskip(NEXT) | instid1(VALU_DEP_1)
	v_lshlrev_b64 v[25:26], 1, v[25:26]
	v_add_co_u32 v25, s0, s2, v25
	s_delay_alu instid0(VALU_DEP_1) | instskip(NEXT) | instid1(VALU_DEP_2)
	v_add_co_ci_u32_e64 v26, s0, s3, v26, s0
	v_add_co_u32 v25, s0, v25, v28
	s_delay_alu instid0(VALU_DEP_1)
	v_add_co_ci_u32_e64 v26, s0, v26, v29, s0
	v_and_b32_e32 v29, 0xffff0000, v27
	global_load_b32 v28, v[25:26], off
	s_branch .LBB11_185
.LBB11_184:                             ;   in Loop: Header=BB11_185 Depth=1
	s_or_b32 exec_lo, exec_lo, s6
	v_lshrrev_b32_e32 v27, 16, v27
	s_delay_alu instid0(VALU_DEP_1) | instskip(SKIP_4) | instid1(VALU_DEP_2)
	v_and_or_b32 v27, 0xffff0000, v36, v27
	global_atomic_cmpswap_b32 v27, v[25:26], v[27:28], off glc
	s_waitcnt vmcnt(0)
	v_cmp_eq_u32_e64 s0, v27, v28
	v_mov_b32_e32 v28, v27
	s_or_b32 s1, s0, s1
	s_delay_alu instid0(SALU_CYCLE_1)
	s_and_not1_b32 exec_lo, exec_lo, s1
	s_cbranch_execz .LBB11_193
.LBB11_185:                             ; =>This Inner Loop Header: Depth=1
	s_waitcnt vmcnt(0)
	v_lshlrev_b32_e32 v27, 16, v28
	s_delay_alu instid0(VALU_DEP_1) | instskip(NEXT) | instid1(VALU_DEP_1)
	v_add_f32_e32 v35, v29, v27
	v_and_b32_e32 v27, 0x7f800000, v35
	s_delay_alu instid0(VALU_DEP_1) | instskip(NEXT) | instid1(VALU_DEP_1)
	v_cmp_ne_u32_e64 s0, 0x7f800000, v27
                                        ; implicit-def: $vgpr27
	s_and_saveexec_b32 s6, s0
	s_delay_alu instid0(SALU_CYCLE_1)
	s_xor_b32 s0, exec_lo, s6
; %bb.186:                              ;   in Loop: Header=BB11_185 Depth=1
	v_bfe_u32 v27, v35, 16, 1
	s_delay_alu instid0(VALU_DEP_1)
	v_add3_u32 v27, v35, v27, 0x7fff
                                        ; implicit-def: $vgpr35
; %bb.187:                              ;   in Loop: Header=BB11_185 Depth=1
	s_and_not1_saveexec_b32 s6, s0
; %bb.188:                              ;   in Loop: Header=BB11_185 Depth=1
	v_and_b32_e32 v27, 0xffff, v35
	v_or_b32_e32 v36, 0x10000, v35
	s_delay_alu instid0(VALU_DEP_2) | instskip(NEXT) | instid1(VALU_DEP_1)
	v_cmp_eq_u32_e64 s0, 0, v27
	v_cndmask_b32_e64 v27, v36, v35, s0
; %bb.189:                              ;   in Loop: Header=BB11_185 Depth=1
	s_or_b32 exec_lo, exec_lo, s6
	v_and_b32_e32 v35, 0xffff0000, v28
	s_delay_alu instid0(VALU_DEP_1) | instskip(NEXT) | instid1(VALU_DEP_1)
	v_add_f32_e32 v35, v30, v35
	v_and_b32_e32 v36, 0x7f800000, v35
	s_delay_alu instid0(VALU_DEP_1) | instskip(NEXT) | instid1(VALU_DEP_1)
	v_cmp_ne_u32_e64 s0, 0x7f800000, v36
                                        ; implicit-def: $vgpr36
	s_and_saveexec_b32 s6, s0
	s_delay_alu instid0(SALU_CYCLE_1)
	s_xor_b32 s0, exec_lo, s6
; %bb.190:                              ;   in Loop: Header=BB11_185 Depth=1
	v_bfe_u32 v36, v35, 16, 1
	s_delay_alu instid0(VALU_DEP_1)
	v_add3_u32 v36, v35, v36, 0x7fff
                                        ; implicit-def: $vgpr35
; %bb.191:                              ;   in Loop: Header=BB11_185 Depth=1
	s_and_not1_saveexec_b32 s6, s0
	s_cbranch_execz .LBB11_184
; %bb.192:                              ;   in Loop: Header=BB11_185 Depth=1
	v_and_b32_e32 v36, 0xffff, v35
	v_or_b32_e32 v37, 0x10000, v35
	s_delay_alu instid0(VALU_DEP_2) | instskip(NEXT) | instid1(VALU_DEP_1)
	v_cmp_eq_u32_e64 s0, 0, v36
	v_cndmask_b32_e64 v36, v37, v35, s0
	s_branch .LBB11_184
.LBB11_193:
	s_or_b32 exec_lo, exec_lo, s5
	s_waitcnt lgkmcnt(0)
	ds_bpermute_b32 v26, v39, v31
	s_and_saveexec_b32 s5, vcc_lo
	s_cbranch_execz .LBB11_213
; %bb.194:
	v_or3_b32 v25, v54, v55, 12
	v_cmp_gt_i32_e64 s1, s17, v33
	s_delay_alu instid0(VALU_DEP_2) | instskip(NEXT) | instid1(VALU_DEP_1)
	v_cmp_gt_i32_e64 s0, s16, v25
	s_and_b32 s0, s0, s1
	s_delay_alu instid0(SALU_CYCLE_1)
	s_and_b32 exec_lo, exec_lo, s0
	s_cbranch_execz .LBB11_213
; %bb.195:
	v_and_b32_e32 v27, 0x7f800000, v31
	s_delay_alu instid0(VALU_DEP_1) | instskip(NEXT) | instid1(VALU_DEP_1)
	v_cmp_ne_u32_e64 s0, 0x7f800000, v27
                                        ; implicit-def: $vgpr27
	s_and_saveexec_b32 s1, s0
	s_delay_alu instid0(SALU_CYCLE_1)
	s_xor_b32 s0, exec_lo, s1
; %bb.196:
	v_bfe_u32 v27, v31, 16, 1
	s_delay_alu instid0(VALU_DEP_1)
	v_add3_u32 v27, v31, v27, 0x7fff
; %bb.197:
	s_and_not1_saveexec_b32 s1, s0
; %bb.198:
	v_and_b32_e32 v27, 0xffff, v31
	v_or_b32_e32 v28, 0x10000, v31
	s_delay_alu instid0(VALU_DEP_2) | instskip(NEXT) | instid1(VALU_DEP_1)
	v_cmp_eq_u32_e64 s0, 0, v27
	v_cndmask_b32_e64 v27, v28, v31, s0
; %bb.199:
	s_or_b32 exec_lo, exec_lo, s1
	s_waitcnt lgkmcnt(0)
	v_and_b32_e32 v28, 0x7f800000, v26
                                        ; implicit-def: $vgpr30
	s_delay_alu instid0(VALU_DEP_1) | instskip(NEXT) | instid1(VALU_DEP_1)
	v_cmp_ne_u32_e64 s0, 0x7f800000, v28
	s_and_saveexec_b32 s1, s0
	s_delay_alu instid0(SALU_CYCLE_1)
	s_xor_b32 s0, exec_lo, s1
; %bb.200:
	v_bfe_u32 v28, v26, 16, 1
	s_delay_alu instid0(VALU_DEP_1)
	v_add3_u32 v30, v26, v28, 0x7fff
                                        ; implicit-def: $vgpr26
; %bb.201:
	s_and_not1_saveexec_b32 s1, s0
; %bb.202:
	v_and_b32_e32 v28, 0xffff, v26
	v_or_b32_e32 v29, 0x10000, v26
	s_delay_alu instid0(VALU_DEP_2) | instskip(NEXT) | instid1(VALU_DEP_1)
	v_cmp_eq_u32_e64 s0, 0, v28
	v_cndmask_b32_e64 v30, v29, v26, s0
; %bb.203:
	s_or_b32 exec_lo, exec_lo, s1
	v_mul_lo_u32 v25, v25, s17
	v_lshlrev_b64 v[28:29], 1, v[33:34]
	s_delay_alu instid0(VALU_DEP_3) | instskip(SKIP_1) | instid1(VALU_DEP_3)
	v_and_b32_e32 v30, 0xffff0000, v30
	s_mov_b32 s1, 0
	v_ashrrev_i32_e32 v26, 31, v25
	s_delay_alu instid0(VALU_DEP_1) | instskip(NEXT) | instid1(VALU_DEP_1)
	v_lshlrev_b64 v[25:26], 1, v[25:26]
	v_add_co_u32 v25, s0, s2, v25
	s_delay_alu instid0(VALU_DEP_1) | instskip(NEXT) | instid1(VALU_DEP_2)
	v_add_co_ci_u32_e64 v26, s0, s3, v26, s0
	v_add_co_u32 v25, s0, v25, v28
	s_delay_alu instid0(VALU_DEP_1)
	v_add_co_ci_u32_e64 v26, s0, v26, v29, s0
	v_and_b32_e32 v29, 0xffff0000, v27
	global_load_b32 v28, v[25:26], off
	s_branch .LBB11_205
.LBB11_204:                             ;   in Loop: Header=BB11_205 Depth=1
	s_or_b32 exec_lo, exec_lo, s6
	v_lshrrev_b32_e32 v27, 16, v27
	s_delay_alu instid0(VALU_DEP_1) | instskip(SKIP_4) | instid1(VALU_DEP_2)
	v_and_or_b32 v27, 0xffff0000, v35, v27
	global_atomic_cmpswap_b32 v27, v[25:26], v[27:28], off glc
	s_waitcnt vmcnt(0)
	v_cmp_eq_u32_e64 s0, v27, v28
	v_mov_b32_e32 v28, v27
	s_or_b32 s1, s0, s1
	s_delay_alu instid0(SALU_CYCLE_1)
	s_and_not1_b32 exec_lo, exec_lo, s1
	s_cbranch_execz .LBB11_213
.LBB11_205:                             ; =>This Inner Loop Header: Depth=1
	s_waitcnt vmcnt(0)
	v_lshlrev_b32_e32 v27, 16, v28
	s_delay_alu instid0(VALU_DEP_1) | instskip(NEXT) | instid1(VALU_DEP_1)
	v_add_f32_e32 v31, v29, v27
	v_and_b32_e32 v27, 0x7f800000, v31
	s_delay_alu instid0(VALU_DEP_1) | instskip(NEXT) | instid1(VALU_DEP_1)
	v_cmp_ne_u32_e64 s0, 0x7f800000, v27
                                        ; implicit-def: $vgpr27
	s_and_saveexec_b32 s6, s0
	s_delay_alu instid0(SALU_CYCLE_1)
	s_xor_b32 s0, exec_lo, s6
; %bb.206:                              ;   in Loop: Header=BB11_205 Depth=1
	v_bfe_u32 v27, v31, 16, 1
	s_delay_alu instid0(VALU_DEP_1)
	v_add3_u32 v27, v31, v27, 0x7fff
                                        ; implicit-def: $vgpr31
; %bb.207:                              ;   in Loop: Header=BB11_205 Depth=1
	s_and_not1_saveexec_b32 s6, s0
; %bb.208:                              ;   in Loop: Header=BB11_205 Depth=1
	v_and_b32_e32 v27, 0xffff, v31
	v_or_b32_e32 v35, 0x10000, v31
	s_delay_alu instid0(VALU_DEP_2) | instskip(NEXT) | instid1(VALU_DEP_1)
	v_cmp_eq_u32_e64 s0, 0, v27
	v_cndmask_b32_e64 v27, v35, v31, s0
; %bb.209:                              ;   in Loop: Header=BB11_205 Depth=1
	s_or_b32 exec_lo, exec_lo, s6
	v_and_b32_e32 v31, 0xffff0000, v28
	s_delay_alu instid0(VALU_DEP_1) | instskip(NEXT) | instid1(VALU_DEP_1)
	v_add_f32_e32 v31, v30, v31
	v_and_b32_e32 v35, 0x7f800000, v31
	s_delay_alu instid0(VALU_DEP_1) | instskip(NEXT) | instid1(VALU_DEP_1)
	v_cmp_ne_u32_e64 s0, 0x7f800000, v35
                                        ; implicit-def: $vgpr35
	s_and_saveexec_b32 s6, s0
	s_delay_alu instid0(SALU_CYCLE_1)
	s_xor_b32 s0, exec_lo, s6
; %bb.210:                              ;   in Loop: Header=BB11_205 Depth=1
	v_bfe_u32 v35, v31, 16, 1
	s_delay_alu instid0(VALU_DEP_1)
	v_add3_u32 v35, v31, v35, 0x7fff
                                        ; implicit-def: $vgpr31
; %bb.211:                              ;   in Loop: Header=BB11_205 Depth=1
	s_and_not1_saveexec_b32 s6, s0
	s_cbranch_execz .LBB11_204
; %bb.212:                              ;   in Loop: Header=BB11_205 Depth=1
	v_and_b32_e32 v35, 0xffff, v31
	v_or_b32_e32 v36, 0x10000, v31
	s_delay_alu instid0(VALU_DEP_2) | instskip(NEXT) | instid1(VALU_DEP_1)
	v_cmp_eq_u32_e64 s0, 0, v35
	v_cndmask_b32_e64 v35, v36, v31, s0
	s_branch .LBB11_204
.LBB11_213:
	s_or_b32 exec_lo, exec_lo, s5
	ds_bpermute_b32 v36, v39, v32
	s_and_saveexec_b32 s1, vcc_lo
	s_cbranch_execz .LBB11_233
; %bb.214:
	v_or3_b32 v35, v54, v55, 14
	v_cmp_gt_i32_e64 s0, s17, v33
	s_delay_alu instid0(VALU_DEP_2) | instskip(NEXT) | instid1(VALU_DEP_2)
	v_cmp_gt_i32_e32 vcc_lo, s16, v35
	s_and_b32 s0, vcc_lo, s0
	s_delay_alu instid0(SALU_CYCLE_1)
	s_and_b32 exec_lo, exec_lo, s0
	s_cbranch_execz .LBB11_233
; %bb.215:
	v_and_b32_e32 v25, 0x7f800000, v32
	s_mov_b32 s0, exec_lo
                                        ; implicit-def: $vgpr37
	s_delay_alu instid0(VALU_DEP_1)
	v_cmpx_ne_u32_e32 0x7f800000, v25
	s_xor_b32 s0, exec_lo, s0
; %bb.216:
	v_bfe_u32 v25, v32, 16, 1
	s_delay_alu instid0(VALU_DEP_1)
	v_add3_u32 v37, v32, v25, 0x7fff
                                        ; implicit-def: $vgpr25_vgpr26_vgpr27_vgpr28_vgpr29_vgpr30_vgpr31_vgpr32
; %bb.217:
	s_and_not1_saveexec_b32 s0, s0
	s_cbranch_execz .LBB11_219
; %bb.218:
	v_and_b32_e32 v25, 0xffff, v32
	s_waitcnt lgkmcnt(1)
	v_or_b32_e32 v26, 0x10000, v32
	s_delay_alu instid0(VALU_DEP_2) | instskip(NEXT) | instid1(VALU_DEP_2)
	v_cmp_eq_u32_e32 vcc_lo, 0, v25
	v_cndmask_b32_e32 v37, v26, v32, vcc_lo
.LBB11_219:
	s_or_b32 exec_lo, exec_lo, s0
	s_waitcnt lgkmcnt(0)
	v_and_b32_e32 v25, 0x7f800000, v36
	s_mov_b32 s0, exec_lo
                                        ; implicit-def: $vgpr27
	s_delay_alu instid0(VALU_DEP_1)
	v_cmpx_ne_u32_e32 0x7f800000, v25
	s_xor_b32 s0, exec_lo, s0
; %bb.220:
	v_bfe_u32 v25, v36, 16, 1
	s_delay_alu instid0(VALU_DEP_1)
	v_add3_u32 v27, v36, v25, 0x7fff
                                        ; implicit-def: $vgpr36
; %bb.221:
	s_and_not1_saveexec_b32 s0, s0
; %bb.222:
	v_and_b32_e32 v25, 0xffff, v36
	v_or_b32_e32 v26, 0x10000, v36
	s_delay_alu instid0(VALU_DEP_2) | instskip(NEXT) | instid1(VALU_DEP_2)
	v_cmp_eq_u32_e32 vcc_lo, 0, v25
	v_cndmask_b32_e32 v27, v26, v36, vcc_lo
; %bb.223:
	s_or_b32 exec_lo, exec_lo, s0
	v_mul_lo_u32 v25, v35, s17
	v_lshlrev_b64 v[28:29], 1, v[33:34]
	s_delay_alu instid0(VALU_DEP_3) | instskip(SKIP_1) | instid1(VALU_DEP_3)
	v_and_b32_e32 v30, 0xffff0000, v27
	s_mov_b32 s0, 0
	v_ashrrev_i32_e32 v26, 31, v25
	s_delay_alu instid0(VALU_DEP_1) | instskip(NEXT) | instid1(VALU_DEP_1)
	v_lshlrev_b64 v[25:26], 1, v[25:26]
	v_add_co_u32 v25, vcc_lo, s2, v25
	s_delay_alu instid0(VALU_DEP_2) | instskip(NEXT) | instid1(VALU_DEP_2)
	v_add_co_ci_u32_e32 v26, vcc_lo, s3, v26, vcc_lo
	v_add_co_u32 v25, vcc_lo, v25, v28
	s_delay_alu instid0(VALU_DEP_2)
	v_add_co_ci_u32_e32 v26, vcc_lo, v26, v29, vcc_lo
	v_and_b32_e32 v29, 0xffff0000, v37
	global_load_b32 v28, v[25:26], off
	s_branch .LBB11_225
.LBB11_224:                             ;   in Loop: Header=BB11_225 Depth=1
	s_or_b32 exec_lo, exec_lo, s5
	v_lshrrev_b32_e32 v27, 16, v27
	s_delay_alu instid0(VALU_DEP_1)
	v_and_or_b32 v27, 0xffff0000, v32, v27
	global_atomic_cmpswap_b32 v27, v[25:26], v[27:28], off glc
	s_waitcnt vmcnt(0)
	v_cmp_eq_u32_e32 vcc_lo, v27, v28
	v_mov_b32_e32 v28, v27
	s_or_b32 s0, vcc_lo, s0
	s_delay_alu instid0(SALU_CYCLE_1)
	s_and_not1_b32 exec_lo, exec_lo, s0
	s_cbranch_execz .LBB11_233
.LBB11_225:                             ; =>This Inner Loop Header: Depth=1
	s_waitcnt vmcnt(0)
	v_lshlrev_b32_e32 v27, 16, v28
	s_delay_alu instid0(VALU_DEP_1) | instskip(NEXT) | instid1(VALU_DEP_1)
	v_add_f32_e32 v31, v29, v27
	v_and_b32_e32 v27, 0x7f800000, v31
	s_delay_alu instid0(VALU_DEP_1) | instskip(SKIP_1) | instid1(SALU_CYCLE_1)
	v_cmp_ne_u32_e32 vcc_lo, 0x7f800000, v27
                                        ; implicit-def: $vgpr27
	s_and_saveexec_b32 s5, vcc_lo
	s_xor_b32 s5, exec_lo, s5
; %bb.226:                              ;   in Loop: Header=BB11_225 Depth=1
	v_bfe_u32 v27, v31, 16, 1
	s_delay_alu instid0(VALU_DEP_1)
	v_add3_u32 v27, v31, v27, 0x7fff
                                        ; implicit-def: $vgpr31
; %bb.227:                              ;   in Loop: Header=BB11_225 Depth=1
	s_and_not1_saveexec_b32 s5, s5
; %bb.228:                              ;   in Loop: Header=BB11_225 Depth=1
	v_and_b32_e32 v27, 0xffff, v31
	v_or_b32_e32 v32, 0x10000, v31
	s_delay_alu instid0(VALU_DEP_2) | instskip(NEXT) | instid1(VALU_DEP_2)
	v_cmp_eq_u32_e32 vcc_lo, 0, v27
	v_cndmask_b32_e32 v27, v32, v31, vcc_lo
; %bb.229:                              ;   in Loop: Header=BB11_225 Depth=1
	s_or_b32 exec_lo, exec_lo, s5
	v_and_b32_e32 v31, 0xffff0000, v28
	s_delay_alu instid0(VALU_DEP_1) | instskip(NEXT) | instid1(VALU_DEP_1)
	v_add_f32_e32 v31, v30, v31
	v_and_b32_e32 v32, 0x7f800000, v31
	s_delay_alu instid0(VALU_DEP_1) | instskip(SKIP_1) | instid1(SALU_CYCLE_1)
	v_cmp_ne_u32_e32 vcc_lo, 0x7f800000, v32
                                        ; implicit-def: $vgpr32
	s_and_saveexec_b32 s5, vcc_lo
	s_xor_b32 s5, exec_lo, s5
; %bb.230:                              ;   in Loop: Header=BB11_225 Depth=1
	v_bfe_u32 v32, v31, 16, 1
	s_delay_alu instid0(VALU_DEP_1)
	v_add3_u32 v32, v31, v32, 0x7fff
                                        ; implicit-def: $vgpr31
; %bb.231:                              ;   in Loop: Header=BB11_225 Depth=1
	s_and_not1_saveexec_b32 s5, s5
	s_cbranch_execz .LBB11_224
; %bb.232:                              ;   in Loop: Header=BB11_225 Depth=1
	v_and_b32_e32 v32, 0xffff, v31
	v_or_b32_e32 v33, 0x10000, v31
	s_delay_alu instid0(VALU_DEP_2) | instskip(NEXT) | instid1(VALU_DEP_2)
	v_cmp_eq_u32_e32 vcc_lo, 0, v32
	v_cndmask_b32_e32 v32, v33, v31, vcc_lo
	s_branch .LBB11_224
.LBB11_233:
	s_or_b32 exec_lo, exec_lo, s1
	s_or_b32 s0, s14, 16
	s_and_b32 vcc_lo, exec_lo, s4
	s_mov_b32 s1, -1
	s_cbranch_vccz .LBB11_18
.LBB11_234:
	v_or_b32_e32 v25, s0, v53
	s_mov_b32 s1, exec_lo
	s_delay_alu instid0(VALU_DEP_1)
	v_cmpx_gt_i32_e64 s17, v25
	s_cbranch_execz .LBB11_283
; %bb.235:
	v_or_b32_e32 v25, v55, v54
	s_mov_b32 s5, exec_lo
	s_delay_alu instid0(VALU_DEP_1)
	v_cmpx_gt_i32_e64 s16, v25
	s_cbranch_execz .LBB11_241
; %bb.236:
	s_waitcnt lgkmcnt(1)
	v_and_b32_e32 v26, 0x7f800000, v17
	s_delay_alu instid0(VALU_DEP_1) | instskip(SKIP_1) | instid1(SALU_CYCLE_1)
	v_cmp_ne_u32_e32 vcc_lo, 0x7f800000, v26
                                        ; implicit-def: $vgpr26
	s_and_saveexec_b32 s6, vcc_lo
	s_xor_b32 s6, exec_lo, s6
; %bb.237:
	v_bfe_u32 v26, v17, 16, 1
	s_delay_alu instid0(VALU_DEP_1)
	v_add3_u32 v26, v17, v26, 0x7fff
; %bb.238:
	s_and_not1_saveexec_b32 s6, s6
; %bb.239:
	v_and_b32_e32 v26, 0xffff, v17
	v_or_b32_e32 v27, 0x10000, v17
	s_delay_alu instid0(VALU_DEP_2) | instskip(NEXT) | instid1(VALU_DEP_2)
	v_cmp_eq_u32_e32 vcc_lo, 0, v26
	v_cndmask_b32_e32 v26, v27, v17, vcc_lo
; %bb.240:
	s_or_b32 exec_lo, exec_lo, s6
	v_mul_lo_u32 v27, v25, s17
	s_ashr_i32 s6, s14, 31
	v_add_co_u32 v29, s7, s14, v53
	s_delay_alu instid0(VALU_DEP_1) | instskip(NEXT) | instid1(VALU_DEP_3)
	v_add_co_ci_u32_e64 v30, null, s6, 0, s7
	v_ashrrev_i32_e32 v28, 31, v27
	s_delay_alu instid0(VALU_DEP_2) | instskip(NEXT) | instid1(VALU_DEP_2)
	v_lshlrev_b64 v[29:30], 1, v[29:30]
	v_lshlrev_b64 v[27:28], 1, v[27:28]
	s_delay_alu instid0(VALU_DEP_1) | instskip(NEXT) | instid1(VALU_DEP_2)
	v_add_co_u32 v27, vcc_lo, s2, v27
	v_add_co_ci_u32_e32 v28, vcc_lo, s3, v28, vcc_lo
	s_delay_alu instid0(VALU_DEP_2) | instskip(NEXT) | instid1(VALU_DEP_2)
	v_add_co_u32 v27, vcc_lo, v27, v29
	v_add_co_ci_u32_e32 v28, vcc_lo, v28, v30, vcc_lo
	global_store_d16_hi_b16 v[27:28], v26, off offset:32
.LBB11_241:
	s_or_b32 exec_lo, exec_lo, s5
	v_or_b32_e32 v27, 2, v25
	s_mov_b32 s5, exec_lo
	s_delay_alu instid0(VALU_DEP_1)
	v_cmpx_gt_i32_e64 s16, v27
	s_cbranch_execz .LBB11_247
; %bb.242:
	s_waitcnt lgkmcnt(1)
	v_and_b32_e32 v26, 0x7f800000, v18
	s_delay_alu instid0(VALU_DEP_1) | instskip(SKIP_1) | instid1(SALU_CYCLE_1)
	v_cmp_ne_u32_e32 vcc_lo, 0x7f800000, v26
                                        ; implicit-def: $vgpr26
	s_and_saveexec_b32 s6, vcc_lo
	s_xor_b32 s6, exec_lo, s6
; %bb.243:
	v_bfe_u32 v26, v18, 16, 1
	s_delay_alu instid0(VALU_DEP_1)
	v_add3_u32 v26, v18, v26, 0x7fff
; %bb.244:
	s_and_not1_saveexec_b32 s6, s6
; %bb.245:
	v_and_b32_e32 v26, 0xffff, v18
	v_or_b32_e32 v28, 0x10000, v18
	s_delay_alu instid0(VALU_DEP_2) | instskip(NEXT) | instid1(VALU_DEP_2)
	v_cmp_eq_u32_e32 vcc_lo, 0, v26
	v_cndmask_b32_e32 v26, v28, v18, vcc_lo
; %bb.246:
	s_or_b32 exec_lo, exec_lo, s6
	v_mul_lo_u32 v27, v27, s17
	s_ashr_i32 s6, s14, 31
	v_add_co_u32 v29, s7, s14, v53
	s_delay_alu instid0(VALU_DEP_1) | instskip(NEXT) | instid1(VALU_DEP_3)
	v_add_co_ci_u32_e64 v30, null, s6, 0, s7
	v_ashrrev_i32_e32 v28, 31, v27
	s_delay_alu instid0(VALU_DEP_2) | instskip(NEXT) | instid1(VALU_DEP_2)
	v_lshlrev_b64 v[29:30], 1, v[29:30]
	v_lshlrev_b64 v[27:28], 1, v[27:28]
	s_delay_alu instid0(VALU_DEP_1) | instskip(NEXT) | instid1(VALU_DEP_2)
	v_add_co_u32 v27, vcc_lo, s2, v27
	v_add_co_ci_u32_e32 v28, vcc_lo, s3, v28, vcc_lo
	s_delay_alu instid0(VALU_DEP_2) | instskip(NEXT) | instid1(VALU_DEP_2)
	v_add_co_u32 v27, vcc_lo, v27, v29
	v_add_co_ci_u32_e32 v28, vcc_lo, v28, v30, vcc_lo
	global_store_d16_hi_b16 v[27:28], v26, off offset:32
.LBB11_247:
	s_or_b32 exec_lo, exec_lo, s5
	;; [unrolled: 45-line block ×7, first 2 shown]
	s_waitcnt lgkmcnt(1)
	v_or_b32_e32 v26, 14, v25
	s_delay_alu instid0(VALU_DEP_1)
	v_cmp_gt_i32_e32 vcc_lo, s16, v26
	s_and_b32 exec_lo, exec_lo, vcc_lo
	s_cbranch_execz .LBB11_283
; %bb.278:
	v_and_b32_e32 v25, 0x7f800000, v24
	s_delay_alu instid0(VALU_DEP_1) | instskip(SKIP_1) | instid1(SALU_CYCLE_1)
	v_cmp_ne_u32_e32 vcc_lo, 0x7f800000, v25
                                        ; implicit-def: $vgpr25
	s_and_saveexec_b32 s5, vcc_lo
	s_xor_b32 s5, exec_lo, s5
; %bb.279:
	v_bfe_u32 v25, v24, 16, 1
	s_delay_alu instid0(VALU_DEP_1)
	v_add3_u32 v25, v24, v25, 0x7fff
; %bb.280:
	s_and_not1_saveexec_b32 s5, s5
; %bb.281:
	v_and_b32_e32 v25, 0xffff, v24
	v_or_b32_e32 v27, 0x10000, v24
	s_delay_alu instid0(VALU_DEP_2) | instskip(NEXT) | instid1(VALU_DEP_2)
	v_cmp_eq_u32_e32 vcc_lo, 0, v25
	v_cndmask_b32_e32 v25, v27, v24, vcc_lo
; %bb.282:
	s_or_b32 exec_lo, exec_lo, s5
	v_mul_lo_u32 v26, v26, s17
	s_ashr_i32 s5, s14, 31
	v_add_co_u32 v28, s6, s14, v53
	s_delay_alu instid0(VALU_DEP_1) | instskip(NEXT) | instid1(VALU_DEP_3)
	v_add_co_ci_u32_e64 v29, null, s5, 0, s6
	v_ashrrev_i32_e32 v27, 31, v26
	s_delay_alu instid0(VALU_DEP_2) | instskip(NEXT) | instid1(VALU_DEP_2)
	v_lshlrev_b64 v[28:29], 1, v[28:29]
	v_lshlrev_b64 v[26:27], 1, v[26:27]
	s_delay_alu instid0(VALU_DEP_1) | instskip(NEXT) | instid1(VALU_DEP_2)
	v_add_co_u32 v26, vcc_lo, s2, v26
	v_add_co_ci_u32_e32 v27, vcc_lo, s3, v27, vcc_lo
	s_delay_alu instid0(VALU_DEP_2) | instskip(NEXT) | instid1(VALU_DEP_2)
	v_add_co_u32 v26, vcc_lo, v26, v28
	v_add_co_ci_u32_e32 v27, vcc_lo, v27, v29, vcc_lo
	global_store_d16_hi_b16 v[26:27], v25, off offset:32
.LBB11_283:
	s_or_b32 exec_lo, exec_lo, s1
	s_cbranch_execnz .LBB11_19
.LBB11_284:
	v_mbcnt_lo_u32_b32 v25, -1, 0
	v_or_b32_e32 v29, s0, v53
	s_waitcnt lgkmcnt(1)
	s_delay_alu instid0(VALU_DEP_2) | instskip(NEXT) | instid1(VALU_DEP_1)
	v_xor_b32_e32 v26, 1, v25
	v_cmp_gt_i32_e32 vcc_lo, 32, v26
	v_dual_cndmask_b32 v25, v25, v26 :: v_dual_and_b32 v26, 1, v0
	s_delay_alu instid0(VALU_DEP_1) | instskip(NEXT) | instid1(VALU_DEP_2)
	v_lshlrev_b32_e32 v30, 2, v25
	v_cmp_eq_u32_e32 vcc_lo, 0, v26
	ds_bpermute_b32 v25, v30, v17
	s_and_saveexec_b32 s5, vcc_lo
	s_cbranch_execz .LBB11_304
; %bb.285:
	v_or_b32_e32 v26, v55, v54
	v_cmp_gt_i32_e64 s1, s17, v29
	s_delay_alu instid0(VALU_DEP_2) | instskip(NEXT) | instid1(VALU_DEP_1)
	v_cmp_gt_i32_e64 s0, s16, v26
	s_and_b32 s0, s0, s1
	s_delay_alu instid0(SALU_CYCLE_1)
	s_and_b32 exec_lo, exec_lo, s0
	s_cbranch_execz .LBB11_304
; %bb.286:
	v_and_b32_e32 v27, 0x7f800000, v17
	s_delay_alu instid0(VALU_DEP_1) | instskip(NEXT) | instid1(VALU_DEP_1)
	v_cmp_ne_u32_e64 s0, 0x7f800000, v27
                                        ; implicit-def: $vgpr27
	s_and_saveexec_b32 s1, s0
	s_delay_alu instid0(SALU_CYCLE_1)
	s_xor_b32 s0, exec_lo, s1
; %bb.287:
	v_bfe_u32 v27, v17, 16, 1
	s_delay_alu instid0(VALU_DEP_1)
	v_add3_u32 v27, v17, v27, 0x7fff
; %bb.288:
	s_and_not1_saveexec_b32 s1, s0
; %bb.289:
	v_and_b32_e32 v27, 0xffff, v17
	v_or_b32_e32 v28, 0x10000, v17
	s_delay_alu instid0(VALU_DEP_2) | instskip(NEXT) | instid1(VALU_DEP_1)
	v_cmp_eq_u32_e64 s0, 0, v27
	v_cndmask_b32_e64 v27, v28, v17, s0
; %bb.290:
	s_or_b32 exec_lo, exec_lo, s1
	s_waitcnt lgkmcnt(0)
	v_and_b32_e32 v17, 0x7f800000, v25
                                        ; implicit-def: $vgpr31
	s_delay_alu instid0(VALU_DEP_1) | instskip(NEXT) | instid1(VALU_DEP_1)
	v_cmp_ne_u32_e64 s0, 0x7f800000, v17
	s_and_saveexec_b32 s1, s0
	s_delay_alu instid0(SALU_CYCLE_1)
	s_xor_b32 s0, exec_lo, s1
; %bb.291:
	v_bfe_u32 v17, v25, 16, 1
	s_delay_alu instid0(VALU_DEP_1)
	v_add3_u32 v31, v25, v17, 0x7fff
                                        ; implicit-def: $vgpr25
; %bb.292:
	s_and_not1_saveexec_b32 s1, s0
; %bb.293:
	v_and_b32_e32 v17, 0xffff, v25
	v_or_b32_e32 v28, 0x10000, v25
	s_delay_alu instid0(VALU_DEP_2) | instskip(NEXT) | instid1(VALU_DEP_1)
	v_cmp_eq_u32_e64 s0, 0, v17
	v_cndmask_b32_e64 v31, v28, v25, s0
; %bb.294:
	s_or_b32 exec_lo, exec_lo, s1
	v_mul_lo_u32 v25, v26, s17
	s_ashr_i32 s0, s14, 31
	v_add_co_u32 v32, s1, s14, v53
	s_delay_alu instid0(VALU_DEP_1) | instskip(SKIP_2) | instid1(VALU_DEP_4)
	v_add_co_ci_u32_e64 v33, null, s0, 0, s1
	v_and_b32_e32 v31, 0xffff0000, v31
	s_mov_b32 s1, 0
	v_ashrrev_i32_e32 v26, 31, v25
	s_delay_alu instid0(VALU_DEP_3) | instskip(NEXT) | instid1(VALU_DEP_2)
	v_lshlrev_b64 v[32:33], 1, v[32:33]
	v_lshlrev_b64 v[25:26], 1, v[25:26]
	s_delay_alu instid0(VALU_DEP_1) | instskip(NEXT) | instid1(VALU_DEP_1)
	v_add_co_u32 v17, s0, s2, v25
	v_add_co_ci_u32_e64 v26, s0, s3, v26, s0
	s_delay_alu instid0(VALU_DEP_2) | instskip(NEXT) | instid1(VALU_DEP_1)
	v_add_co_u32 v25, s0, v17, v32
	v_add_co_ci_u32_e64 v26, s0, v26, v33, s0
	v_and_b32_e32 v17, 0xffff0000, v27
	global_load_b32 v28, v[25:26], off offset:32
	s_branch .LBB11_296
.LBB11_295:                             ;   in Loop: Header=BB11_296 Depth=1
	s_or_b32 exec_lo, exec_lo, s6
	v_lshrrev_b32_e32 v27, 16, v27
	s_delay_alu instid0(VALU_DEP_1) | instskip(SKIP_4) | instid1(VALU_DEP_2)
	v_and_or_b32 v27, 0xffff0000, v33, v27
	global_atomic_cmpswap_b32 v27, v[25:26], v[27:28], off offset:32 glc
	s_waitcnt vmcnt(0)
	v_cmp_eq_u32_e64 s0, v27, v28
	v_mov_b32_e32 v28, v27
	s_or_b32 s1, s0, s1
	s_delay_alu instid0(SALU_CYCLE_1)
	s_and_not1_b32 exec_lo, exec_lo, s1
	s_cbranch_execz .LBB11_304
.LBB11_296:                             ; =>This Inner Loop Header: Depth=1
	s_waitcnt vmcnt(0)
	v_lshlrev_b32_e32 v27, 16, v28
	s_delay_alu instid0(VALU_DEP_1) | instskip(NEXT) | instid1(VALU_DEP_1)
	v_add_f32_e32 v32, v17, v27
	v_and_b32_e32 v27, 0x7f800000, v32
	s_delay_alu instid0(VALU_DEP_1) | instskip(NEXT) | instid1(VALU_DEP_1)
	v_cmp_ne_u32_e64 s0, 0x7f800000, v27
                                        ; implicit-def: $vgpr27
	s_and_saveexec_b32 s6, s0
	s_delay_alu instid0(SALU_CYCLE_1)
	s_xor_b32 s0, exec_lo, s6
; %bb.297:                              ;   in Loop: Header=BB11_296 Depth=1
	v_bfe_u32 v27, v32, 16, 1
	s_delay_alu instid0(VALU_DEP_1)
	v_add3_u32 v27, v32, v27, 0x7fff
                                        ; implicit-def: $vgpr32
; %bb.298:                              ;   in Loop: Header=BB11_296 Depth=1
	s_and_not1_saveexec_b32 s6, s0
; %bb.299:                              ;   in Loop: Header=BB11_296 Depth=1
	v_and_b32_e32 v27, 0xffff, v32
	v_or_b32_e32 v33, 0x10000, v32
	s_delay_alu instid0(VALU_DEP_2) | instskip(NEXT) | instid1(VALU_DEP_1)
	v_cmp_eq_u32_e64 s0, 0, v27
	v_cndmask_b32_e64 v27, v33, v32, s0
; %bb.300:                              ;   in Loop: Header=BB11_296 Depth=1
	s_or_b32 exec_lo, exec_lo, s6
	v_and_b32_e32 v32, 0xffff0000, v28
	s_delay_alu instid0(VALU_DEP_1) | instskip(NEXT) | instid1(VALU_DEP_1)
	v_add_f32_e32 v32, v31, v32
	v_and_b32_e32 v33, 0x7f800000, v32
	s_delay_alu instid0(VALU_DEP_1) | instskip(NEXT) | instid1(VALU_DEP_1)
	v_cmp_ne_u32_e64 s0, 0x7f800000, v33
                                        ; implicit-def: $vgpr33
	s_and_saveexec_b32 s6, s0
	s_delay_alu instid0(SALU_CYCLE_1)
	s_xor_b32 s0, exec_lo, s6
; %bb.301:                              ;   in Loop: Header=BB11_296 Depth=1
	v_bfe_u32 v33, v32, 16, 1
	s_delay_alu instid0(VALU_DEP_1)
	v_add3_u32 v33, v32, v33, 0x7fff
                                        ; implicit-def: $vgpr32
; %bb.302:                              ;   in Loop: Header=BB11_296 Depth=1
	s_and_not1_saveexec_b32 s6, s0
	s_cbranch_execz .LBB11_295
; %bb.303:                              ;   in Loop: Header=BB11_296 Depth=1
	v_and_b32_e32 v33, 0xffff, v32
	v_or_b32_e32 v34, 0x10000, v32
	s_delay_alu instid0(VALU_DEP_2) | instskip(NEXT) | instid1(VALU_DEP_1)
	v_cmp_eq_u32_e64 s0, 0, v33
	v_cndmask_b32_e64 v33, v34, v32, s0
	s_branch .LBB11_295
.LBB11_304:
	s_or_b32 exec_lo, exec_lo, s5
	ds_bpermute_b32 v26, v30, v18
	s_and_saveexec_b32 s5, vcc_lo
	s_cbranch_execz .LBB11_324
; %bb.305:
	v_or3_b32 v17, v54, v55, 2
	v_cmp_gt_i32_e64 s1, s17, v29
	s_delay_alu instid0(VALU_DEP_2) | instskip(NEXT) | instid1(VALU_DEP_1)
	v_cmp_gt_i32_e64 s0, s16, v17
	s_and_b32 s0, s0, s1
	s_delay_alu instid0(SALU_CYCLE_1)
	s_and_b32 exec_lo, exec_lo, s0
	s_cbranch_execz .LBB11_324
; %bb.306:
	s_waitcnt lgkmcnt(1)
	v_and_b32_e32 v25, 0x7f800000, v18
	s_delay_alu instid0(VALU_DEP_1) | instskip(NEXT) | instid1(VALU_DEP_1)
	v_cmp_ne_u32_e64 s0, 0x7f800000, v25
                                        ; implicit-def: $vgpr25
	s_and_saveexec_b32 s1, s0
	s_delay_alu instid0(SALU_CYCLE_1)
	s_xor_b32 s0, exec_lo, s1
; %bb.307:
	v_bfe_u32 v25, v18, 16, 1
	s_delay_alu instid0(VALU_DEP_1)
	v_add3_u32 v25, v18, v25, 0x7fff
; %bb.308:
	s_and_not1_saveexec_b32 s1, s0
; %bb.309:
	v_and_b32_e32 v25, 0xffff, v18
	v_or_b32_e32 v27, 0x10000, v18
	s_delay_alu instid0(VALU_DEP_2) | instskip(NEXT) | instid1(VALU_DEP_1)
	v_cmp_eq_u32_e64 s0, 0, v25
	v_cndmask_b32_e64 v25, v27, v18, s0
; %bb.310:
	s_or_b32 exec_lo, exec_lo, s1
	s_waitcnt lgkmcnt(0)
	v_and_b32_e32 v18, 0x7f800000, v26
                                        ; implicit-def: $vgpr28
	s_delay_alu instid0(VALU_DEP_1) | instskip(NEXT) | instid1(VALU_DEP_1)
	v_cmp_ne_u32_e64 s0, 0x7f800000, v18
	s_and_saveexec_b32 s1, s0
	s_delay_alu instid0(SALU_CYCLE_1)
	s_xor_b32 s0, exec_lo, s1
; %bb.311:
	v_bfe_u32 v18, v26, 16, 1
	s_delay_alu instid0(VALU_DEP_1)
	v_add3_u32 v28, v26, v18, 0x7fff
                                        ; implicit-def: $vgpr26
; %bb.312:
	s_and_not1_saveexec_b32 s1, s0
; %bb.313:
	v_and_b32_e32 v18, 0xffff, v26
	v_or_b32_e32 v27, 0x10000, v26
	s_delay_alu instid0(VALU_DEP_2) | instskip(NEXT) | instid1(VALU_DEP_1)
	v_cmp_eq_u32_e64 s0, 0, v18
	v_cndmask_b32_e64 v28, v27, v26, s0
; %bb.314:
	s_or_b32 exec_lo, exec_lo, s1
	v_mul_lo_u32 v17, v17, s17
	s_ashr_i32 s0, s14, 31
	v_add_co_u32 v26, s1, s14, v53
	s_delay_alu instid0(VALU_DEP_1) | instskip(SKIP_2) | instid1(VALU_DEP_4)
	v_add_co_ci_u32_e64 v27, null, s0, 0, s1
	v_and_b32_e32 v28, 0xffff0000, v28
	s_mov_b32 s1, 0
	v_ashrrev_i32_e32 v18, 31, v17
	s_delay_alu instid0(VALU_DEP_3) | instskip(NEXT) | instid1(VALU_DEP_2)
	v_lshlrev_b64 v[26:27], 1, v[26:27]
	v_lshlrev_b64 v[17:18], 1, v[17:18]
	s_delay_alu instid0(VALU_DEP_1) | instskip(NEXT) | instid1(VALU_DEP_1)
	v_add_co_u32 v17, s0, s2, v17
	v_add_co_ci_u32_e64 v18, s0, s3, v18, s0
	s_delay_alu instid0(VALU_DEP_2) | instskip(NEXT) | instid1(VALU_DEP_1)
	v_add_co_u32 v17, s0, v17, v26
	v_add_co_ci_u32_e64 v18, s0, v18, v27, s0
	v_and_b32_e32 v27, 0xffff0000, v25
	global_load_b32 v26, v[17:18], off offset:32
	s_branch .LBB11_316
.LBB11_315:                             ;   in Loop: Header=BB11_316 Depth=1
	s_or_b32 exec_lo, exec_lo, s6
	v_lshrrev_b32_e32 v25, 16, v25
	s_delay_alu instid0(VALU_DEP_1) | instskip(SKIP_4) | instid1(VALU_DEP_2)
	v_and_or_b32 v25, 0xffff0000, v32, v25
	global_atomic_cmpswap_b32 v25, v[17:18], v[25:26], off offset:32 glc
	s_waitcnt vmcnt(0)
	v_cmp_eq_u32_e64 s0, v25, v26
	v_mov_b32_e32 v26, v25
	s_or_b32 s1, s0, s1
	s_delay_alu instid0(SALU_CYCLE_1)
	s_and_not1_b32 exec_lo, exec_lo, s1
	s_cbranch_execz .LBB11_324
.LBB11_316:                             ; =>This Inner Loop Header: Depth=1
	s_waitcnt vmcnt(0)
	v_lshlrev_b32_e32 v25, 16, v26
	s_delay_alu instid0(VALU_DEP_1) | instskip(NEXT) | instid1(VALU_DEP_1)
	v_add_f32_e32 v31, v27, v25
	v_and_b32_e32 v25, 0x7f800000, v31
	s_delay_alu instid0(VALU_DEP_1) | instskip(NEXT) | instid1(VALU_DEP_1)
	v_cmp_ne_u32_e64 s0, 0x7f800000, v25
                                        ; implicit-def: $vgpr25
	s_and_saveexec_b32 s6, s0
	s_delay_alu instid0(SALU_CYCLE_1)
	s_xor_b32 s0, exec_lo, s6
; %bb.317:                              ;   in Loop: Header=BB11_316 Depth=1
	v_bfe_u32 v25, v31, 16, 1
	s_delay_alu instid0(VALU_DEP_1)
	v_add3_u32 v25, v31, v25, 0x7fff
                                        ; implicit-def: $vgpr31
; %bb.318:                              ;   in Loop: Header=BB11_316 Depth=1
	s_and_not1_saveexec_b32 s6, s0
; %bb.319:                              ;   in Loop: Header=BB11_316 Depth=1
	v_and_b32_e32 v25, 0xffff, v31
	v_or_b32_e32 v32, 0x10000, v31
	s_delay_alu instid0(VALU_DEP_2) | instskip(NEXT) | instid1(VALU_DEP_1)
	v_cmp_eq_u32_e64 s0, 0, v25
	v_cndmask_b32_e64 v25, v32, v31, s0
; %bb.320:                              ;   in Loop: Header=BB11_316 Depth=1
	s_or_b32 exec_lo, exec_lo, s6
	v_and_b32_e32 v31, 0xffff0000, v26
	s_delay_alu instid0(VALU_DEP_1) | instskip(NEXT) | instid1(VALU_DEP_1)
	v_add_f32_e32 v31, v28, v31
	v_and_b32_e32 v32, 0x7f800000, v31
	s_delay_alu instid0(VALU_DEP_1) | instskip(NEXT) | instid1(VALU_DEP_1)
	v_cmp_ne_u32_e64 s0, 0x7f800000, v32
                                        ; implicit-def: $vgpr32
	s_and_saveexec_b32 s6, s0
	s_delay_alu instid0(SALU_CYCLE_1)
	s_xor_b32 s0, exec_lo, s6
; %bb.321:                              ;   in Loop: Header=BB11_316 Depth=1
	v_bfe_u32 v32, v31, 16, 1
	s_delay_alu instid0(VALU_DEP_1)
	v_add3_u32 v32, v31, v32, 0x7fff
                                        ; implicit-def: $vgpr31
; %bb.322:                              ;   in Loop: Header=BB11_316 Depth=1
	s_and_not1_saveexec_b32 s6, s0
	s_cbranch_execz .LBB11_315
; %bb.323:                              ;   in Loop: Header=BB11_316 Depth=1
	v_and_b32_e32 v32, 0xffff, v31
	v_or_b32_e32 v33, 0x10000, v31
	s_delay_alu instid0(VALU_DEP_2) | instskip(NEXT) | instid1(VALU_DEP_1)
	v_cmp_eq_u32_e64 s0, 0, v32
	v_cndmask_b32_e64 v32, v33, v31, s0
	s_branch .LBB11_315
.LBB11_324:
	s_or_b32 exec_lo, exec_lo, s5
	ds_bpermute_b32 v18, v30, v19
	s_and_saveexec_b32 s5, vcc_lo
	s_cbranch_execz .LBB11_344
; %bb.325:
	v_or3_b32 v17, v54, v55, 4
	v_cmp_gt_i32_e64 s1, s17, v29
	s_delay_alu instid0(VALU_DEP_2) | instskip(NEXT) | instid1(VALU_DEP_1)
	v_cmp_gt_i32_e64 s0, s16, v17
	s_and_b32 s0, s0, s1
	s_delay_alu instid0(SALU_CYCLE_1)
	s_and_b32 exec_lo, exec_lo, s0
	s_cbranch_execz .LBB11_344
; %bb.326:
	s_waitcnt lgkmcnt(2)
	v_and_b32_e32 v25, 0x7f800000, v19
	s_delay_alu instid0(VALU_DEP_1) | instskip(NEXT) | instid1(VALU_DEP_1)
	v_cmp_ne_u32_e64 s0, 0x7f800000, v25
                                        ; implicit-def: $vgpr25
	s_and_saveexec_b32 s1, s0
	s_delay_alu instid0(SALU_CYCLE_1)
	s_xor_b32 s0, exec_lo, s1
; %bb.327:
	v_bfe_u32 v25, v19, 16, 1
	s_delay_alu instid0(VALU_DEP_1)
	v_add3_u32 v25, v19, v25, 0x7fff
; %bb.328:
	s_and_not1_saveexec_b32 s1, s0
	s_cbranch_execz .LBB11_330
; %bb.329:
	v_and_b32_e32 v25, 0xffff, v19
	s_waitcnt lgkmcnt(1)
	v_or_b32_e32 v26, 0x10000, v19
	s_delay_alu instid0(VALU_DEP_2) | instskip(NEXT) | instid1(VALU_DEP_1)
	v_cmp_eq_u32_e64 s0, 0, v25
	v_cndmask_b32_e64 v25, v26, v19, s0
.LBB11_330:
	s_or_b32 exec_lo, exec_lo, s1
	s_waitcnt lgkmcnt(0)
	v_and_b32_e32 v19, 0x7f800000, v18
                                        ; implicit-def: $vgpr27
	s_delay_alu instid0(VALU_DEP_1) | instskip(NEXT) | instid1(VALU_DEP_1)
	v_cmp_ne_u32_e64 s0, 0x7f800000, v19
	s_and_saveexec_b32 s1, s0
	s_delay_alu instid0(SALU_CYCLE_1)
	s_xor_b32 s0, exec_lo, s1
; %bb.331:
	v_bfe_u32 v19, v18, 16, 1
	s_delay_alu instid0(VALU_DEP_1)
	v_add3_u32 v27, v18, v19, 0x7fff
                                        ; implicit-def: $vgpr18
; %bb.332:
	s_and_not1_saveexec_b32 s1, s0
; %bb.333:
	v_and_b32_e32 v19, 0xffff, v18
	v_or_b32_e32 v26, 0x10000, v18
	s_delay_alu instid0(VALU_DEP_2) | instskip(NEXT) | instid1(VALU_DEP_1)
	v_cmp_eq_u32_e64 s0, 0, v19
	v_cndmask_b32_e64 v27, v26, v18, s0
; %bb.334:
	s_or_b32 exec_lo, exec_lo, s1
	v_mul_lo_u32 v17, v17, s17
	s_ashr_i32 s0, s14, 31
	v_add_co_u32 v31, s1, s14, v53
	s_delay_alu instid0(VALU_DEP_1) | instskip(SKIP_3) | instid1(VALU_DEP_4)
	v_add_co_ci_u32_e64 v32, null, s0, 0, s1
	v_and_b32_e32 v19, 0xffff0000, v25
	v_and_b32_e32 v27, 0xffff0000, v27
	v_ashrrev_i32_e32 v18, 31, v17
	v_lshlrev_b64 v[31:32], 1, v[31:32]
	s_mov_b32 s1, 0
	s_delay_alu instid0(VALU_DEP_2) | instskip(NEXT) | instid1(VALU_DEP_1)
	v_lshlrev_b64 v[17:18], 1, v[17:18]
	v_add_co_u32 v17, s0, s2, v17
	s_delay_alu instid0(VALU_DEP_1) | instskip(NEXT) | instid1(VALU_DEP_2)
	v_add_co_ci_u32_e64 v18, s0, s3, v18, s0
	v_add_co_u32 v17, s0, v17, v31
	s_delay_alu instid0(VALU_DEP_1)
	v_add_co_ci_u32_e64 v18, s0, v18, v32, s0
	global_load_b32 v26, v[17:18], off offset:32
	s_branch .LBB11_336
.LBB11_335:                             ;   in Loop: Header=BB11_336 Depth=1
	s_or_b32 exec_lo, exec_lo, s6
	v_lshrrev_b32_e32 v25, 16, v25
	s_delay_alu instid0(VALU_DEP_1) | instskip(SKIP_4) | instid1(VALU_DEP_2)
	v_and_or_b32 v25, 0xffff0000, v31, v25
	global_atomic_cmpswap_b32 v25, v[17:18], v[25:26], off offset:32 glc
	s_waitcnt vmcnt(0)
	v_cmp_eq_u32_e64 s0, v25, v26
	v_mov_b32_e32 v26, v25
	s_or_b32 s1, s0, s1
	s_delay_alu instid0(SALU_CYCLE_1)
	s_and_not1_b32 exec_lo, exec_lo, s1
	s_cbranch_execz .LBB11_344
.LBB11_336:                             ; =>This Inner Loop Header: Depth=1
	s_waitcnt vmcnt(0)
	v_lshlrev_b32_e32 v25, 16, v26
	s_delay_alu instid0(VALU_DEP_1) | instskip(NEXT) | instid1(VALU_DEP_1)
	v_add_f32_e32 v28, v19, v25
	v_and_b32_e32 v25, 0x7f800000, v28
	s_delay_alu instid0(VALU_DEP_1) | instskip(NEXT) | instid1(VALU_DEP_1)
	v_cmp_ne_u32_e64 s0, 0x7f800000, v25
                                        ; implicit-def: $vgpr25
	s_and_saveexec_b32 s6, s0
	s_delay_alu instid0(SALU_CYCLE_1)
	s_xor_b32 s0, exec_lo, s6
; %bb.337:                              ;   in Loop: Header=BB11_336 Depth=1
	v_bfe_u32 v25, v28, 16, 1
	s_delay_alu instid0(VALU_DEP_1)
	v_add3_u32 v25, v28, v25, 0x7fff
                                        ; implicit-def: $vgpr28
; %bb.338:                              ;   in Loop: Header=BB11_336 Depth=1
	s_and_not1_saveexec_b32 s6, s0
; %bb.339:                              ;   in Loop: Header=BB11_336 Depth=1
	v_and_b32_e32 v25, 0xffff, v28
	v_or_b32_e32 v31, 0x10000, v28
	s_delay_alu instid0(VALU_DEP_2) | instskip(NEXT) | instid1(VALU_DEP_1)
	v_cmp_eq_u32_e64 s0, 0, v25
	v_cndmask_b32_e64 v25, v31, v28, s0
; %bb.340:                              ;   in Loop: Header=BB11_336 Depth=1
	s_or_b32 exec_lo, exec_lo, s6
	v_and_b32_e32 v28, 0xffff0000, v26
	s_delay_alu instid0(VALU_DEP_1) | instskip(NEXT) | instid1(VALU_DEP_1)
	v_add_f32_e32 v28, v27, v28
	v_and_b32_e32 v31, 0x7f800000, v28
	s_delay_alu instid0(VALU_DEP_1) | instskip(NEXT) | instid1(VALU_DEP_1)
	v_cmp_ne_u32_e64 s0, 0x7f800000, v31
                                        ; implicit-def: $vgpr31
	s_and_saveexec_b32 s6, s0
	s_delay_alu instid0(SALU_CYCLE_1)
	s_xor_b32 s0, exec_lo, s6
; %bb.341:                              ;   in Loop: Header=BB11_336 Depth=1
	v_bfe_u32 v31, v28, 16, 1
	s_delay_alu instid0(VALU_DEP_1)
	v_add3_u32 v31, v28, v31, 0x7fff
                                        ; implicit-def: $vgpr28
; %bb.342:                              ;   in Loop: Header=BB11_336 Depth=1
	s_and_not1_saveexec_b32 s6, s0
	s_cbranch_execz .LBB11_335
; %bb.343:                              ;   in Loop: Header=BB11_336 Depth=1
	v_and_b32_e32 v31, 0xffff, v28
	v_or_b32_e32 v32, 0x10000, v28
	s_delay_alu instid0(VALU_DEP_2) | instskip(NEXT) | instid1(VALU_DEP_1)
	v_cmp_eq_u32_e64 s0, 0, v31
	v_cndmask_b32_e64 v31, v32, v28, s0
	s_branch .LBB11_335
.LBB11_344:
	s_or_b32 exec_lo, exec_lo, s5
	s_waitcnt lgkmcnt(0)
	ds_bpermute_b32 v18, v30, v20
	s_and_saveexec_b32 s5, vcc_lo
	s_cbranch_execz .LBB11_364
; %bb.345:
	v_or3_b32 v17, v54, v55, 6
	v_cmp_gt_i32_e64 s1, s17, v29
	s_delay_alu instid0(VALU_DEP_2) | instskip(NEXT) | instid1(VALU_DEP_1)
	v_cmp_gt_i32_e64 s0, s16, v17
	s_and_b32 s0, s0, s1
	s_delay_alu instid0(SALU_CYCLE_1)
	s_and_b32 exec_lo, exec_lo, s0
	s_cbranch_execz .LBB11_364
; %bb.346:
	v_and_b32_e32 v19, 0x7f800000, v20
	s_delay_alu instid0(VALU_DEP_1) | instskip(NEXT) | instid1(VALU_DEP_1)
	v_cmp_ne_u32_e64 s0, 0x7f800000, v19
                                        ; implicit-def: $vgpr19
	s_and_saveexec_b32 s1, s0
	s_delay_alu instid0(SALU_CYCLE_1)
	s_xor_b32 s0, exec_lo, s1
; %bb.347:
	v_bfe_u32 v19, v20, 16, 1
	s_delay_alu instid0(VALU_DEP_1)
	v_add3_u32 v19, v20, v19, 0x7fff
; %bb.348:
	s_and_not1_saveexec_b32 s1, s0
; %bb.349:
	v_and_b32_e32 v19, 0xffff, v20
	v_or_b32_e32 v25, 0x10000, v20
	s_delay_alu instid0(VALU_DEP_2) | instskip(NEXT) | instid1(VALU_DEP_1)
	v_cmp_eq_u32_e64 s0, 0, v19
	v_cndmask_b32_e64 v19, v25, v20, s0
; %bb.350:
	s_or_b32 exec_lo, exec_lo, s1
	s_waitcnt lgkmcnt(0)
	v_and_b32_e32 v20, 0x7f800000, v18
                                        ; implicit-def: $vgpr26
	s_delay_alu instid0(VALU_DEP_1) | instskip(NEXT) | instid1(VALU_DEP_1)
	v_cmp_ne_u32_e64 s0, 0x7f800000, v20
	s_and_saveexec_b32 s1, s0
	s_delay_alu instid0(SALU_CYCLE_1)
	s_xor_b32 s0, exec_lo, s1
; %bb.351:
	v_bfe_u32 v20, v18, 16, 1
	s_delay_alu instid0(VALU_DEP_1)
	v_add3_u32 v26, v18, v20, 0x7fff
                                        ; implicit-def: $vgpr18
; %bb.352:
	s_and_not1_saveexec_b32 s1, s0
; %bb.353:
	v_and_b32_e32 v20, 0xffff, v18
	v_or_b32_e32 v25, 0x10000, v18
	s_delay_alu instid0(VALU_DEP_2) | instskip(NEXT) | instid1(VALU_DEP_1)
	v_cmp_eq_u32_e64 s0, 0, v20
	v_cndmask_b32_e64 v26, v25, v18, s0
; %bb.354:
	s_or_b32 exec_lo, exec_lo, s1
	v_mul_lo_u32 v17, v17, s17
	s_ashr_i32 s0, s14, 31
	v_add_co_u32 v27, s1, s14, v53
	s_delay_alu instid0(VALU_DEP_1) | instskip(SKIP_3) | instid1(VALU_DEP_4)
	v_add_co_ci_u32_e64 v28, null, s0, 0, s1
	v_and_b32_e32 v25, 0xffff0000, v19
	v_and_b32_e32 v26, 0xffff0000, v26
	v_ashrrev_i32_e32 v18, 31, v17
	v_lshlrev_b64 v[27:28], 1, v[27:28]
	s_mov_b32 s1, 0
	s_delay_alu instid0(VALU_DEP_2) | instskip(NEXT) | instid1(VALU_DEP_1)
	v_lshlrev_b64 v[17:18], 1, v[17:18]
	v_add_co_u32 v17, s0, s2, v17
	s_delay_alu instid0(VALU_DEP_1) | instskip(NEXT) | instid1(VALU_DEP_2)
	v_add_co_ci_u32_e64 v18, s0, s3, v18, s0
	v_add_co_u32 v17, s0, v17, v27
	s_delay_alu instid0(VALU_DEP_1)
	v_add_co_ci_u32_e64 v18, s0, v18, v28, s0
	global_load_b32 v20, v[17:18], off offset:32
	s_branch .LBB11_356
.LBB11_355:                             ;   in Loop: Header=BB11_356 Depth=1
	s_or_b32 exec_lo, exec_lo, s6
	v_lshrrev_b32_e32 v19, 16, v19
	s_delay_alu instid0(VALU_DEP_1) | instskip(SKIP_4) | instid1(VALU_DEP_2)
	v_and_or_b32 v19, 0xffff0000, v28, v19
	global_atomic_cmpswap_b32 v19, v[17:18], v[19:20], off offset:32 glc
	s_waitcnt vmcnt(0)
	v_cmp_eq_u32_e64 s0, v19, v20
	v_mov_b32_e32 v20, v19
	s_or_b32 s1, s0, s1
	s_delay_alu instid0(SALU_CYCLE_1)
	s_and_not1_b32 exec_lo, exec_lo, s1
	s_cbranch_execz .LBB11_364
.LBB11_356:                             ; =>This Inner Loop Header: Depth=1
	s_waitcnt vmcnt(0)
	v_lshlrev_b32_e32 v19, 16, v20
	s_delay_alu instid0(VALU_DEP_1) | instskip(NEXT) | instid1(VALU_DEP_1)
	v_add_f32_e32 v27, v25, v19
	v_and_b32_e32 v19, 0x7f800000, v27
	s_delay_alu instid0(VALU_DEP_1) | instskip(NEXT) | instid1(VALU_DEP_1)
	v_cmp_ne_u32_e64 s0, 0x7f800000, v19
                                        ; implicit-def: $vgpr19
	s_and_saveexec_b32 s6, s0
	s_delay_alu instid0(SALU_CYCLE_1)
	s_xor_b32 s0, exec_lo, s6
; %bb.357:                              ;   in Loop: Header=BB11_356 Depth=1
	v_bfe_u32 v19, v27, 16, 1
	s_delay_alu instid0(VALU_DEP_1)
	v_add3_u32 v19, v27, v19, 0x7fff
                                        ; implicit-def: $vgpr27
; %bb.358:                              ;   in Loop: Header=BB11_356 Depth=1
	s_and_not1_saveexec_b32 s6, s0
; %bb.359:                              ;   in Loop: Header=BB11_356 Depth=1
	v_and_b32_e32 v19, 0xffff, v27
	v_or_b32_e32 v28, 0x10000, v27
	s_delay_alu instid0(VALU_DEP_2) | instskip(NEXT) | instid1(VALU_DEP_1)
	v_cmp_eq_u32_e64 s0, 0, v19
	v_cndmask_b32_e64 v19, v28, v27, s0
; %bb.360:                              ;   in Loop: Header=BB11_356 Depth=1
	s_or_b32 exec_lo, exec_lo, s6
	v_and_b32_e32 v27, 0xffff0000, v20
	s_delay_alu instid0(VALU_DEP_1) | instskip(NEXT) | instid1(VALU_DEP_1)
	v_add_f32_e32 v27, v26, v27
	v_and_b32_e32 v28, 0x7f800000, v27
	s_delay_alu instid0(VALU_DEP_1) | instskip(NEXT) | instid1(VALU_DEP_1)
	v_cmp_ne_u32_e64 s0, 0x7f800000, v28
                                        ; implicit-def: $vgpr28
	s_and_saveexec_b32 s6, s0
	s_delay_alu instid0(SALU_CYCLE_1)
	s_xor_b32 s0, exec_lo, s6
; %bb.361:                              ;   in Loop: Header=BB11_356 Depth=1
	v_bfe_u32 v28, v27, 16, 1
	s_delay_alu instid0(VALU_DEP_1)
	v_add3_u32 v28, v27, v28, 0x7fff
                                        ; implicit-def: $vgpr27
; %bb.362:                              ;   in Loop: Header=BB11_356 Depth=1
	s_and_not1_saveexec_b32 s6, s0
	s_cbranch_execz .LBB11_355
; %bb.363:                              ;   in Loop: Header=BB11_356 Depth=1
	v_and_b32_e32 v28, 0xffff, v27
	v_or_b32_e32 v31, 0x10000, v27
	s_delay_alu instid0(VALU_DEP_2) | instskip(NEXT) | instid1(VALU_DEP_1)
	v_cmp_eq_u32_e64 s0, 0, v28
	v_cndmask_b32_e64 v28, v31, v27, s0
	s_branch .LBB11_355
.LBB11_364:
	s_or_b32 exec_lo, exec_lo, s5
	s_waitcnt lgkmcnt(0)
	ds_bpermute_b32 v18, v30, v21
	s_and_saveexec_b32 s5, vcc_lo
	s_cbranch_execz .LBB11_384
; %bb.365:
	v_or3_b32 v17, v54, v55, 8
	v_cmp_gt_i32_e64 s1, s17, v29
	s_delay_alu instid0(VALU_DEP_2) | instskip(NEXT) | instid1(VALU_DEP_1)
	v_cmp_gt_i32_e64 s0, s16, v17
	s_and_b32 s0, s0, s1
	s_delay_alu instid0(SALU_CYCLE_1)
	s_and_b32 exec_lo, exec_lo, s0
	s_cbranch_execz .LBB11_384
; %bb.366:
	v_and_b32_e32 v19, 0x7f800000, v21
	s_delay_alu instid0(VALU_DEP_1) | instskip(NEXT) | instid1(VALU_DEP_1)
	v_cmp_ne_u32_e64 s0, 0x7f800000, v19
                                        ; implicit-def: $vgpr19
	s_and_saveexec_b32 s1, s0
	s_delay_alu instid0(SALU_CYCLE_1)
	s_xor_b32 s0, exec_lo, s1
; %bb.367:
	v_bfe_u32 v19, v21, 16, 1
	s_delay_alu instid0(VALU_DEP_1)
	v_add3_u32 v19, v21, v19, 0x7fff
; %bb.368:
	s_and_not1_saveexec_b32 s1, s0
; %bb.369:
	v_and_b32_e32 v19, 0xffff, v21
	v_or_b32_e32 v20, 0x10000, v21
	s_delay_alu instid0(VALU_DEP_2) | instskip(NEXT) | instid1(VALU_DEP_1)
	v_cmp_eq_u32_e64 s0, 0, v19
	v_cndmask_b32_e64 v19, v20, v21, s0
; %bb.370:
	s_or_b32 exec_lo, exec_lo, s1
	s_waitcnt lgkmcnt(0)
	v_and_b32_e32 v20, 0x7f800000, v18
                                        ; implicit-def: $vgpr25
	s_delay_alu instid0(VALU_DEP_1) | instskip(NEXT) | instid1(VALU_DEP_1)
	v_cmp_ne_u32_e64 s0, 0x7f800000, v20
	s_and_saveexec_b32 s1, s0
	s_delay_alu instid0(SALU_CYCLE_1)
	s_xor_b32 s0, exec_lo, s1
; %bb.371:
	v_bfe_u32 v20, v18, 16, 1
	s_delay_alu instid0(VALU_DEP_1)
	v_add3_u32 v25, v18, v20, 0x7fff
                                        ; implicit-def: $vgpr18
; %bb.372:
	s_and_not1_saveexec_b32 s1, s0
; %bb.373:
	v_and_b32_e32 v20, 0xffff, v18
	v_or_b32_e32 v21, 0x10000, v18
	s_delay_alu instid0(VALU_DEP_2) | instskip(NEXT) | instid1(VALU_DEP_1)
	v_cmp_eq_u32_e64 s0, 0, v20
	v_cndmask_b32_e64 v25, v21, v18, s0
; %bb.374:
	s_or_b32 exec_lo, exec_lo, s1
	v_mul_lo_u32 v17, v17, s17
	s_ashr_i32 s0, s14, 31
	v_add_co_u32 v20, s1, s14, v53
	s_delay_alu instid0(VALU_DEP_1) | instskip(SKIP_2) | instid1(VALU_DEP_4)
	v_add_co_ci_u32_e64 v21, null, s0, 0, s1
	v_and_b32_e32 v25, 0xffff0000, v25
	s_mov_b32 s1, 0
	v_ashrrev_i32_e32 v18, 31, v17
	s_delay_alu instid0(VALU_DEP_3) | instskip(NEXT) | instid1(VALU_DEP_2)
	v_lshlrev_b64 v[20:21], 1, v[20:21]
	v_lshlrev_b64 v[17:18], 1, v[17:18]
	s_delay_alu instid0(VALU_DEP_1) | instskip(NEXT) | instid1(VALU_DEP_1)
	v_add_co_u32 v17, s0, s2, v17
	v_add_co_ci_u32_e64 v18, s0, s3, v18, s0
	s_delay_alu instid0(VALU_DEP_2) | instskip(NEXT) | instid1(VALU_DEP_1)
	v_add_co_u32 v17, s0, v17, v20
	v_add_co_ci_u32_e64 v18, s0, v18, v21, s0
	v_and_b32_e32 v21, 0xffff0000, v19
	global_load_b32 v20, v[17:18], off offset:32
	s_branch .LBB11_376
.LBB11_375:                             ;   in Loop: Header=BB11_376 Depth=1
	s_or_b32 exec_lo, exec_lo, s6
	v_lshrrev_b32_e32 v19, 16, v19
	s_delay_alu instid0(VALU_DEP_1) | instskip(SKIP_4) | instid1(VALU_DEP_2)
	v_and_or_b32 v19, 0xffff0000, v27, v19
	global_atomic_cmpswap_b32 v19, v[17:18], v[19:20], off offset:32 glc
	s_waitcnt vmcnt(0)
	v_cmp_eq_u32_e64 s0, v19, v20
	v_mov_b32_e32 v20, v19
	s_or_b32 s1, s0, s1
	s_delay_alu instid0(SALU_CYCLE_1)
	s_and_not1_b32 exec_lo, exec_lo, s1
	s_cbranch_execz .LBB11_384
.LBB11_376:                             ; =>This Inner Loop Header: Depth=1
	s_waitcnt vmcnt(0)
	v_lshlrev_b32_e32 v19, 16, v20
	s_delay_alu instid0(VALU_DEP_1) | instskip(NEXT) | instid1(VALU_DEP_1)
	v_add_f32_e32 v26, v21, v19
	v_and_b32_e32 v19, 0x7f800000, v26
	s_delay_alu instid0(VALU_DEP_1) | instskip(NEXT) | instid1(VALU_DEP_1)
	v_cmp_ne_u32_e64 s0, 0x7f800000, v19
                                        ; implicit-def: $vgpr19
	s_and_saveexec_b32 s6, s0
	s_delay_alu instid0(SALU_CYCLE_1)
	s_xor_b32 s0, exec_lo, s6
; %bb.377:                              ;   in Loop: Header=BB11_376 Depth=1
	v_bfe_u32 v19, v26, 16, 1
	s_delay_alu instid0(VALU_DEP_1)
	v_add3_u32 v19, v26, v19, 0x7fff
                                        ; implicit-def: $vgpr26
; %bb.378:                              ;   in Loop: Header=BB11_376 Depth=1
	s_and_not1_saveexec_b32 s6, s0
; %bb.379:                              ;   in Loop: Header=BB11_376 Depth=1
	v_and_b32_e32 v19, 0xffff, v26
	v_or_b32_e32 v27, 0x10000, v26
	s_delay_alu instid0(VALU_DEP_2) | instskip(NEXT) | instid1(VALU_DEP_1)
	v_cmp_eq_u32_e64 s0, 0, v19
	v_cndmask_b32_e64 v19, v27, v26, s0
; %bb.380:                              ;   in Loop: Header=BB11_376 Depth=1
	s_or_b32 exec_lo, exec_lo, s6
	v_and_b32_e32 v26, 0xffff0000, v20
	s_delay_alu instid0(VALU_DEP_1) | instskip(NEXT) | instid1(VALU_DEP_1)
	v_add_f32_e32 v26, v25, v26
	v_and_b32_e32 v27, 0x7f800000, v26
	s_delay_alu instid0(VALU_DEP_1) | instskip(NEXT) | instid1(VALU_DEP_1)
	v_cmp_ne_u32_e64 s0, 0x7f800000, v27
                                        ; implicit-def: $vgpr27
	s_and_saveexec_b32 s6, s0
	s_delay_alu instid0(SALU_CYCLE_1)
	s_xor_b32 s0, exec_lo, s6
; %bb.381:                              ;   in Loop: Header=BB11_376 Depth=1
	v_bfe_u32 v27, v26, 16, 1
	s_delay_alu instid0(VALU_DEP_1)
	v_add3_u32 v27, v26, v27, 0x7fff
                                        ; implicit-def: $vgpr26
; %bb.382:                              ;   in Loop: Header=BB11_376 Depth=1
	s_and_not1_saveexec_b32 s6, s0
	s_cbranch_execz .LBB11_375
; %bb.383:                              ;   in Loop: Header=BB11_376 Depth=1
	v_and_b32_e32 v27, 0xffff, v26
	v_or_b32_e32 v28, 0x10000, v26
	s_delay_alu instid0(VALU_DEP_2) | instskip(NEXT) | instid1(VALU_DEP_1)
	v_cmp_eq_u32_e64 s0, 0, v27
	v_cndmask_b32_e64 v27, v28, v26, s0
	s_branch .LBB11_375
.LBB11_384:
	s_or_b32 exec_lo, exec_lo, s5
	s_waitcnt lgkmcnt(0)
	ds_bpermute_b32 v18, v30, v22
	s_and_saveexec_b32 s5, vcc_lo
	s_cbranch_execz .LBB11_404
; %bb.385:
	v_or3_b32 v17, v54, v55, 10
	v_cmp_gt_i32_e64 s1, s17, v29
	s_delay_alu instid0(VALU_DEP_2) | instskip(NEXT) | instid1(VALU_DEP_1)
	v_cmp_gt_i32_e64 s0, s16, v17
	s_and_b32 s0, s0, s1
	s_delay_alu instid0(SALU_CYCLE_1)
	s_and_b32 exec_lo, exec_lo, s0
	s_cbranch_execz .LBB11_404
; %bb.386:
	v_and_b32_e32 v19, 0x7f800000, v22
	s_delay_alu instid0(VALU_DEP_1) | instskip(NEXT) | instid1(VALU_DEP_1)
	v_cmp_ne_u32_e64 s0, 0x7f800000, v19
                                        ; implicit-def: $vgpr19
	s_and_saveexec_b32 s1, s0
	s_delay_alu instid0(SALU_CYCLE_1)
	s_xor_b32 s0, exec_lo, s1
; %bb.387:
	v_bfe_u32 v19, v22, 16, 1
	s_delay_alu instid0(VALU_DEP_1)
	v_add3_u32 v19, v22, v19, 0x7fff
; %bb.388:
	s_and_not1_saveexec_b32 s1, s0
; %bb.389:
	v_and_b32_e32 v19, 0xffff, v22
	v_or_b32_e32 v20, 0x10000, v22
	s_delay_alu instid0(VALU_DEP_2) | instskip(NEXT) | instid1(VALU_DEP_1)
	v_cmp_eq_u32_e64 s0, 0, v19
	v_cndmask_b32_e64 v19, v20, v22, s0
; %bb.390:
	s_or_b32 exec_lo, exec_lo, s1
	s_waitcnt lgkmcnt(0)
	v_and_b32_e32 v20, 0x7f800000, v18
                                        ; implicit-def: $vgpr22
	s_delay_alu instid0(VALU_DEP_1) | instskip(NEXT) | instid1(VALU_DEP_1)
	v_cmp_ne_u32_e64 s0, 0x7f800000, v20
	s_and_saveexec_b32 s1, s0
	s_delay_alu instid0(SALU_CYCLE_1)
	s_xor_b32 s0, exec_lo, s1
; %bb.391:
	v_bfe_u32 v20, v18, 16, 1
	s_delay_alu instid0(VALU_DEP_1)
	v_add3_u32 v22, v18, v20, 0x7fff
                                        ; implicit-def: $vgpr18
; %bb.392:
	s_and_not1_saveexec_b32 s1, s0
; %bb.393:
	v_and_b32_e32 v20, 0xffff, v18
	v_or_b32_e32 v21, 0x10000, v18
	s_delay_alu instid0(VALU_DEP_2) | instskip(NEXT) | instid1(VALU_DEP_1)
	v_cmp_eq_u32_e64 s0, 0, v20
	v_cndmask_b32_e64 v22, v21, v18, s0
; %bb.394:
	s_or_b32 exec_lo, exec_lo, s1
	v_mul_lo_u32 v17, v17, s17
	s_ashr_i32 s0, s14, 31
	v_add_co_u32 v20, s1, s14, v53
	s_delay_alu instid0(VALU_DEP_1) | instskip(SKIP_2) | instid1(VALU_DEP_4)
	v_add_co_ci_u32_e64 v21, null, s0, 0, s1
	v_and_b32_e32 v22, 0xffff0000, v22
	s_mov_b32 s1, 0
	v_ashrrev_i32_e32 v18, 31, v17
	s_delay_alu instid0(VALU_DEP_3) | instskip(NEXT) | instid1(VALU_DEP_2)
	v_lshlrev_b64 v[20:21], 1, v[20:21]
	v_lshlrev_b64 v[17:18], 1, v[17:18]
	s_delay_alu instid0(VALU_DEP_1) | instskip(NEXT) | instid1(VALU_DEP_1)
	v_add_co_u32 v17, s0, s2, v17
	v_add_co_ci_u32_e64 v18, s0, s3, v18, s0
	s_delay_alu instid0(VALU_DEP_2) | instskip(NEXT) | instid1(VALU_DEP_1)
	v_add_co_u32 v17, s0, v17, v20
	v_add_co_ci_u32_e64 v18, s0, v18, v21, s0
	v_and_b32_e32 v21, 0xffff0000, v19
	global_load_b32 v20, v[17:18], off offset:32
	s_branch .LBB11_396
.LBB11_395:                             ;   in Loop: Header=BB11_396 Depth=1
	s_or_b32 exec_lo, exec_lo, s6
	v_lshrrev_b32_e32 v19, 16, v19
	s_delay_alu instid0(VALU_DEP_1) | instskip(SKIP_4) | instid1(VALU_DEP_2)
	v_and_or_b32 v19, 0xffff0000, v26, v19
	global_atomic_cmpswap_b32 v19, v[17:18], v[19:20], off offset:32 glc
	s_waitcnt vmcnt(0)
	v_cmp_eq_u32_e64 s0, v19, v20
	v_mov_b32_e32 v20, v19
	s_or_b32 s1, s0, s1
	s_delay_alu instid0(SALU_CYCLE_1)
	s_and_not1_b32 exec_lo, exec_lo, s1
	s_cbranch_execz .LBB11_404
.LBB11_396:                             ; =>This Inner Loop Header: Depth=1
	s_waitcnt vmcnt(0)
	v_lshlrev_b32_e32 v19, 16, v20
	s_delay_alu instid0(VALU_DEP_1) | instskip(NEXT) | instid1(VALU_DEP_1)
	v_add_f32_e32 v25, v21, v19
	v_and_b32_e32 v19, 0x7f800000, v25
	s_delay_alu instid0(VALU_DEP_1) | instskip(NEXT) | instid1(VALU_DEP_1)
	v_cmp_ne_u32_e64 s0, 0x7f800000, v19
                                        ; implicit-def: $vgpr19
	s_and_saveexec_b32 s6, s0
	s_delay_alu instid0(SALU_CYCLE_1)
	s_xor_b32 s0, exec_lo, s6
; %bb.397:                              ;   in Loop: Header=BB11_396 Depth=1
	v_bfe_u32 v19, v25, 16, 1
	s_delay_alu instid0(VALU_DEP_1)
	v_add3_u32 v19, v25, v19, 0x7fff
                                        ; implicit-def: $vgpr25
; %bb.398:                              ;   in Loop: Header=BB11_396 Depth=1
	s_and_not1_saveexec_b32 s6, s0
; %bb.399:                              ;   in Loop: Header=BB11_396 Depth=1
	v_and_b32_e32 v19, 0xffff, v25
	v_or_b32_e32 v26, 0x10000, v25
	s_delay_alu instid0(VALU_DEP_2) | instskip(NEXT) | instid1(VALU_DEP_1)
	v_cmp_eq_u32_e64 s0, 0, v19
	v_cndmask_b32_e64 v19, v26, v25, s0
; %bb.400:                              ;   in Loop: Header=BB11_396 Depth=1
	s_or_b32 exec_lo, exec_lo, s6
	v_and_b32_e32 v25, 0xffff0000, v20
	s_delay_alu instid0(VALU_DEP_1) | instskip(NEXT) | instid1(VALU_DEP_1)
	v_add_f32_e32 v25, v22, v25
	v_and_b32_e32 v26, 0x7f800000, v25
	s_delay_alu instid0(VALU_DEP_1) | instskip(NEXT) | instid1(VALU_DEP_1)
	v_cmp_ne_u32_e64 s0, 0x7f800000, v26
                                        ; implicit-def: $vgpr26
	s_and_saveexec_b32 s6, s0
	s_delay_alu instid0(SALU_CYCLE_1)
	s_xor_b32 s0, exec_lo, s6
; %bb.401:                              ;   in Loop: Header=BB11_396 Depth=1
	v_bfe_u32 v26, v25, 16, 1
	s_delay_alu instid0(VALU_DEP_1)
	v_add3_u32 v26, v25, v26, 0x7fff
                                        ; implicit-def: $vgpr25
; %bb.402:                              ;   in Loop: Header=BB11_396 Depth=1
	s_and_not1_saveexec_b32 s6, s0
	s_cbranch_execz .LBB11_395
; %bb.403:                              ;   in Loop: Header=BB11_396 Depth=1
	v_and_b32_e32 v26, 0xffff, v25
	v_or_b32_e32 v27, 0x10000, v25
	s_delay_alu instid0(VALU_DEP_2) | instskip(NEXT) | instid1(VALU_DEP_1)
	v_cmp_eq_u32_e64 s0, 0, v26
	v_cndmask_b32_e64 v26, v27, v25, s0
	s_branch .LBB11_395
.LBB11_404:
	s_or_b32 exec_lo, exec_lo, s5
	s_waitcnt lgkmcnt(0)
	ds_bpermute_b32 v18, v30, v23
	s_and_saveexec_b32 s5, vcc_lo
	s_cbranch_execz .LBB11_424
; %bb.405:
	v_or3_b32 v17, v54, v55, 12
	v_cmp_gt_i32_e64 s1, s17, v29
	s_delay_alu instid0(VALU_DEP_2) | instskip(NEXT) | instid1(VALU_DEP_1)
	v_cmp_gt_i32_e64 s0, s16, v17
	s_and_b32 s0, s0, s1
	s_delay_alu instid0(SALU_CYCLE_1)
	s_and_b32 exec_lo, exec_lo, s0
	s_cbranch_execz .LBB11_424
; %bb.406:
	v_and_b32_e32 v19, 0x7f800000, v23
	s_delay_alu instid0(VALU_DEP_1) | instskip(NEXT) | instid1(VALU_DEP_1)
	v_cmp_ne_u32_e64 s0, 0x7f800000, v19
                                        ; implicit-def: $vgpr19
	s_and_saveexec_b32 s1, s0
	s_delay_alu instid0(SALU_CYCLE_1)
	s_xor_b32 s0, exec_lo, s1
; %bb.407:
	v_bfe_u32 v19, v23, 16, 1
	s_delay_alu instid0(VALU_DEP_1)
	v_add3_u32 v19, v23, v19, 0x7fff
; %bb.408:
	s_and_not1_saveexec_b32 s1, s0
; %bb.409:
	v_and_b32_e32 v19, 0xffff, v23
	v_or_b32_e32 v20, 0x10000, v23
	s_delay_alu instid0(VALU_DEP_2) | instskip(NEXT) | instid1(VALU_DEP_1)
	v_cmp_eq_u32_e64 s0, 0, v19
	v_cndmask_b32_e64 v19, v20, v23, s0
; %bb.410:
	s_or_b32 exec_lo, exec_lo, s1
	s_waitcnt lgkmcnt(0)
	v_and_b32_e32 v20, 0x7f800000, v18
                                        ; implicit-def: $vgpr22
	s_delay_alu instid0(VALU_DEP_1) | instskip(NEXT) | instid1(VALU_DEP_1)
	v_cmp_ne_u32_e64 s0, 0x7f800000, v20
	s_and_saveexec_b32 s1, s0
	s_delay_alu instid0(SALU_CYCLE_1)
	s_xor_b32 s0, exec_lo, s1
; %bb.411:
	v_bfe_u32 v20, v18, 16, 1
	s_delay_alu instid0(VALU_DEP_1)
	v_add3_u32 v22, v18, v20, 0x7fff
                                        ; implicit-def: $vgpr18
; %bb.412:
	s_and_not1_saveexec_b32 s1, s0
; %bb.413:
	v_and_b32_e32 v20, 0xffff, v18
	v_or_b32_e32 v21, 0x10000, v18
	s_delay_alu instid0(VALU_DEP_2) | instskip(NEXT) | instid1(VALU_DEP_1)
	v_cmp_eq_u32_e64 s0, 0, v20
	v_cndmask_b32_e64 v22, v21, v18, s0
; %bb.414:
	s_or_b32 exec_lo, exec_lo, s1
	v_mul_lo_u32 v17, v17, s17
	s_ashr_i32 s0, s14, 31
	v_add_co_u32 v20, s1, s14, v53
	s_delay_alu instid0(VALU_DEP_1) | instskip(SKIP_2) | instid1(VALU_DEP_4)
	v_add_co_ci_u32_e64 v21, null, s0, 0, s1
	v_and_b32_e32 v22, 0xffff0000, v22
	s_mov_b32 s1, 0
	v_ashrrev_i32_e32 v18, 31, v17
	s_delay_alu instid0(VALU_DEP_3) | instskip(NEXT) | instid1(VALU_DEP_2)
	v_lshlrev_b64 v[20:21], 1, v[20:21]
	v_lshlrev_b64 v[17:18], 1, v[17:18]
	s_delay_alu instid0(VALU_DEP_1) | instskip(NEXT) | instid1(VALU_DEP_1)
	v_add_co_u32 v17, s0, s2, v17
	v_add_co_ci_u32_e64 v18, s0, s3, v18, s0
	s_delay_alu instid0(VALU_DEP_2) | instskip(NEXT) | instid1(VALU_DEP_1)
	v_add_co_u32 v17, s0, v17, v20
	v_add_co_ci_u32_e64 v18, s0, v18, v21, s0
	v_and_b32_e32 v21, 0xffff0000, v19
	global_load_b32 v20, v[17:18], off offset:32
	s_branch .LBB11_416
.LBB11_415:                             ;   in Loop: Header=BB11_416 Depth=1
	s_or_b32 exec_lo, exec_lo, s6
	v_lshrrev_b32_e32 v19, 16, v19
	s_delay_alu instid0(VALU_DEP_1) | instskip(SKIP_4) | instid1(VALU_DEP_2)
	v_and_or_b32 v19, 0xffff0000, v25, v19
	global_atomic_cmpswap_b32 v19, v[17:18], v[19:20], off offset:32 glc
	s_waitcnt vmcnt(0)
	v_cmp_eq_u32_e64 s0, v19, v20
	v_mov_b32_e32 v20, v19
	s_or_b32 s1, s0, s1
	s_delay_alu instid0(SALU_CYCLE_1)
	s_and_not1_b32 exec_lo, exec_lo, s1
	s_cbranch_execz .LBB11_424
.LBB11_416:                             ; =>This Inner Loop Header: Depth=1
	s_waitcnt vmcnt(0)
	v_lshlrev_b32_e32 v19, 16, v20
	s_delay_alu instid0(VALU_DEP_1) | instskip(NEXT) | instid1(VALU_DEP_1)
	v_add_f32_e32 v23, v21, v19
	v_and_b32_e32 v19, 0x7f800000, v23
	s_delay_alu instid0(VALU_DEP_1) | instskip(NEXT) | instid1(VALU_DEP_1)
	v_cmp_ne_u32_e64 s0, 0x7f800000, v19
                                        ; implicit-def: $vgpr19
	s_and_saveexec_b32 s6, s0
	s_delay_alu instid0(SALU_CYCLE_1)
	s_xor_b32 s0, exec_lo, s6
; %bb.417:                              ;   in Loop: Header=BB11_416 Depth=1
	v_bfe_u32 v19, v23, 16, 1
	s_delay_alu instid0(VALU_DEP_1)
	v_add3_u32 v19, v23, v19, 0x7fff
                                        ; implicit-def: $vgpr23
; %bb.418:                              ;   in Loop: Header=BB11_416 Depth=1
	s_and_not1_saveexec_b32 s6, s0
; %bb.419:                              ;   in Loop: Header=BB11_416 Depth=1
	v_and_b32_e32 v19, 0xffff, v23
	v_or_b32_e32 v25, 0x10000, v23
	s_delay_alu instid0(VALU_DEP_2) | instskip(NEXT) | instid1(VALU_DEP_1)
	v_cmp_eq_u32_e64 s0, 0, v19
	v_cndmask_b32_e64 v19, v25, v23, s0
; %bb.420:                              ;   in Loop: Header=BB11_416 Depth=1
	s_or_b32 exec_lo, exec_lo, s6
	v_and_b32_e32 v23, 0xffff0000, v20
	s_delay_alu instid0(VALU_DEP_1) | instskip(NEXT) | instid1(VALU_DEP_1)
	v_add_f32_e32 v23, v22, v23
	v_and_b32_e32 v25, 0x7f800000, v23
	s_delay_alu instid0(VALU_DEP_1) | instskip(NEXT) | instid1(VALU_DEP_1)
	v_cmp_ne_u32_e64 s0, 0x7f800000, v25
                                        ; implicit-def: $vgpr25
	s_and_saveexec_b32 s6, s0
	s_delay_alu instid0(SALU_CYCLE_1)
	s_xor_b32 s0, exec_lo, s6
; %bb.421:                              ;   in Loop: Header=BB11_416 Depth=1
	v_bfe_u32 v25, v23, 16, 1
	s_delay_alu instid0(VALU_DEP_1)
	v_add3_u32 v25, v23, v25, 0x7fff
                                        ; implicit-def: $vgpr23
; %bb.422:                              ;   in Loop: Header=BB11_416 Depth=1
	s_and_not1_saveexec_b32 s6, s0
	s_cbranch_execz .LBB11_415
; %bb.423:                              ;   in Loop: Header=BB11_416 Depth=1
	v_and_b32_e32 v25, 0xffff, v23
	v_or_b32_e32 v26, 0x10000, v23
	s_delay_alu instid0(VALU_DEP_2) | instskip(NEXT) | instid1(VALU_DEP_1)
	v_cmp_eq_u32_e64 s0, 0, v25
	v_cndmask_b32_e64 v25, v26, v23, s0
	s_branch .LBB11_415
.LBB11_424:
	s_or_b32 exec_lo, exec_lo, s5
	ds_bpermute_b32 v27, v30, v24
	s_and_saveexec_b32 s1, vcc_lo
	s_cbranch_execz .LBB11_444
; %bb.425:
	v_or3_b32 v26, v54, v55, 14
	v_cmp_gt_i32_e64 s0, s17, v29
	s_delay_alu instid0(VALU_DEP_2) | instskip(NEXT) | instid1(VALU_DEP_2)
	v_cmp_gt_i32_e32 vcc_lo, s16, v26
	s_and_b32 s0, vcc_lo, s0
	s_delay_alu instid0(SALU_CYCLE_1)
	s_and_b32 exec_lo, exec_lo, s0
	s_cbranch_execz .LBB11_444
; %bb.426:
	v_and_b32_e32 v17, 0x7f800000, v24
	s_mov_b32 s0, exec_lo
                                        ; implicit-def: $vgpr25
	s_delay_alu instid0(VALU_DEP_1)
	v_cmpx_ne_u32_e32 0x7f800000, v17
	s_xor_b32 s0, exec_lo, s0
; %bb.427:
	v_bfe_u32 v17, v24, 16, 1
	s_delay_alu instid0(VALU_DEP_1)
	v_add3_u32 v25, v24, v17, 0x7fff
                                        ; implicit-def: $vgpr17_vgpr18_vgpr19_vgpr20_vgpr21_vgpr22_vgpr23_vgpr24
; %bb.428:
	s_and_not1_saveexec_b32 s0, s0
	s_cbranch_execz .LBB11_430
; %bb.429:
	v_and_b32_e32 v17, 0xffff, v24
	s_waitcnt lgkmcnt(1)
	v_or_b32_e32 v18, 0x10000, v24
	s_delay_alu instid0(VALU_DEP_2) | instskip(NEXT) | instid1(VALU_DEP_2)
	v_cmp_eq_u32_e32 vcc_lo, 0, v17
	v_cndmask_b32_e32 v25, v18, v24, vcc_lo
.LBB11_430:
	s_or_b32 exec_lo, exec_lo, s0
	s_waitcnt lgkmcnt(0)
	v_and_b32_e32 v17, 0x7f800000, v27
	s_mov_b32 s0, exec_lo
                                        ; implicit-def: $vgpr19
	s_delay_alu instid0(VALU_DEP_1)
	v_cmpx_ne_u32_e32 0x7f800000, v17
	s_xor_b32 s0, exec_lo, s0
; %bb.431:
	v_bfe_u32 v17, v27, 16, 1
	s_delay_alu instid0(VALU_DEP_1)
	v_add3_u32 v19, v27, v17, 0x7fff
                                        ; implicit-def: $vgpr27
; %bb.432:
	s_and_not1_saveexec_b32 s0, s0
; %bb.433:
	v_and_b32_e32 v17, 0xffff, v27
	v_or_b32_e32 v18, 0x10000, v27
	s_delay_alu instid0(VALU_DEP_2) | instskip(NEXT) | instid1(VALU_DEP_2)
	v_cmp_eq_u32_e32 vcc_lo, 0, v17
	v_cndmask_b32_e32 v19, v18, v27, vcc_lo
; %bb.434:
	s_or_b32 exec_lo, exec_lo, s0
	v_mul_lo_u32 v17, v26, s17
	s_ashr_i32 s0, s14, 31
	v_add_co_u32 v20, s5, s14, v53
	s_delay_alu instid0(VALU_DEP_1) | instskip(SKIP_2) | instid1(VALU_DEP_4)
	v_add_co_ci_u32_e64 v21, null, s0, 0, s5
	v_and_b32_e32 v22, 0xffff0000, v19
	s_mov_b32 s0, 0
	v_ashrrev_i32_e32 v18, 31, v17
	s_delay_alu instid0(VALU_DEP_3) | instskip(NEXT) | instid1(VALU_DEP_2)
	v_lshlrev_b64 v[20:21], 1, v[20:21]
	v_lshlrev_b64 v[17:18], 1, v[17:18]
	s_delay_alu instid0(VALU_DEP_1) | instskip(NEXT) | instid1(VALU_DEP_2)
	v_add_co_u32 v17, vcc_lo, s2, v17
	v_add_co_ci_u32_e32 v18, vcc_lo, s3, v18, vcc_lo
	s_delay_alu instid0(VALU_DEP_2) | instskip(NEXT) | instid1(VALU_DEP_2)
	v_add_co_u32 v17, vcc_lo, v17, v20
	v_add_co_ci_u32_e32 v18, vcc_lo, v18, v21, vcc_lo
	v_and_b32_e32 v21, 0xffff0000, v25
	global_load_b32 v20, v[17:18], off offset:32
	s_branch .LBB11_436
.LBB11_435:                             ;   in Loop: Header=BB11_436 Depth=1
	s_or_b32 exec_lo, exec_lo, s5
	v_lshrrev_b32_e32 v19, 16, v19
	s_delay_alu instid0(VALU_DEP_1)
	v_and_or_b32 v19, 0xffff0000, v24, v19
	global_atomic_cmpswap_b32 v19, v[17:18], v[19:20], off offset:32 glc
	s_waitcnt vmcnt(0)
	v_cmp_eq_u32_e32 vcc_lo, v19, v20
	v_mov_b32_e32 v20, v19
	s_or_b32 s0, vcc_lo, s0
	s_delay_alu instid0(SALU_CYCLE_1)
	s_and_not1_b32 exec_lo, exec_lo, s0
	s_cbranch_execz .LBB11_444
.LBB11_436:                             ; =>This Inner Loop Header: Depth=1
	s_waitcnt vmcnt(0)
	v_lshlrev_b32_e32 v19, 16, v20
	s_delay_alu instid0(VALU_DEP_1) | instskip(NEXT) | instid1(VALU_DEP_1)
	v_add_f32_e32 v23, v21, v19
	v_and_b32_e32 v19, 0x7f800000, v23
	s_delay_alu instid0(VALU_DEP_1) | instskip(SKIP_1) | instid1(SALU_CYCLE_1)
	v_cmp_ne_u32_e32 vcc_lo, 0x7f800000, v19
                                        ; implicit-def: $vgpr19
	s_and_saveexec_b32 s5, vcc_lo
	s_xor_b32 s5, exec_lo, s5
; %bb.437:                              ;   in Loop: Header=BB11_436 Depth=1
	v_bfe_u32 v19, v23, 16, 1
	s_delay_alu instid0(VALU_DEP_1)
	v_add3_u32 v19, v23, v19, 0x7fff
                                        ; implicit-def: $vgpr23
; %bb.438:                              ;   in Loop: Header=BB11_436 Depth=1
	s_and_not1_saveexec_b32 s5, s5
; %bb.439:                              ;   in Loop: Header=BB11_436 Depth=1
	v_and_b32_e32 v19, 0xffff, v23
	v_or_b32_e32 v24, 0x10000, v23
	s_delay_alu instid0(VALU_DEP_2) | instskip(NEXT) | instid1(VALU_DEP_2)
	v_cmp_eq_u32_e32 vcc_lo, 0, v19
	v_cndmask_b32_e32 v19, v24, v23, vcc_lo
; %bb.440:                              ;   in Loop: Header=BB11_436 Depth=1
	s_or_b32 exec_lo, exec_lo, s5
	v_and_b32_e32 v23, 0xffff0000, v20
	s_delay_alu instid0(VALU_DEP_1) | instskip(NEXT) | instid1(VALU_DEP_1)
	v_add_f32_e32 v23, v22, v23
	v_and_b32_e32 v24, 0x7f800000, v23
	s_delay_alu instid0(VALU_DEP_1) | instskip(SKIP_1) | instid1(SALU_CYCLE_1)
	v_cmp_ne_u32_e32 vcc_lo, 0x7f800000, v24
                                        ; implicit-def: $vgpr24
	s_and_saveexec_b32 s5, vcc_lo
	s_xor_b32 s5, exec_lo, s5
; %bb.441:                              ;   in Loop: Header=BB11_436 Depth=1
	v_bfe_u32 v24, v23, 16, 1
	s_delay_alu instid0(VALU_DEP_1)
	v_add3_u32 v24, v23, v24, 0x7fff
                                        ; implicit-def: $vgpr23
; %bb.442:                              ;   in Loop: Header=BB11_436 Depth=1
	s_and_not1_saveexec_b32 s5, s5
	s_cbranch_execz .LBB11_435
; %bb.443:                              ;   in Loop: Header=BB11_436 Depth=1
	v_and_b32_e32 v24, 0xffff, v23
	v_or_b32_e32 v25, 0x10000, v23
	s_delay_alu instid0(VALU_DEP_2) | instskip(NEXT) | instid1(VALU_DEP_2)
	v_cmp_eq_u32_e32 vcc_lo, 0, v24
	v_cndmask_b32_e32 v24, v25, v23, vcc_lo
	s_branch .LBB11_435
.LBB11_444:
	s_or_b32 exec_lo, exec_lo, s1
	s_or_b32 s0, s14, 32
	s_and_b32 vcc_lo, exec_lo, s4
	s_mov_b32 s1, -1
	s_cbranch_vccz .LBB11_20
.LBB11_445:
	v_or_b32_e32 v17, s0, v53
	s_mov_b32 s1, exec_lo
	s_delay_alu instid0(VALU_DEP_1)
	v_cmpx_gt_i32_e64 s17, v17
	s_cbranch_execz .LBB11_494
; %bb.446:
	v_or_b32_e32 v17, v55, v54
	s_mov_b32 s5, exec_lo
	s_delay_alu instid0(VALU_DEP_1)
	v_cmpx_gt_i32_e64 s16, v17
	s_cbranch_execz .LBB11_452
; %bb.447:
	s_waitcnt lgkmcnt(1)
	v_and_b32_e32 v18, 0x7f800000, v9
	s_delay_alu instid0(VALU_DEP_1) | instskip(SKIP_1) | instid1(SALU_CYCLE_1)
	v_cmp_ne_u32_e32 vcc_lo, 0x7f800000, v18
                                        ; implicit-def: $vgpr18
	s_and_saveexec_b32 s6, vcc_lo
	s_xor_b32 s6, exec_lo, s6
; %bb.448:
	v_bfe_u32 v18, v9, 16, 1
	s_delay_alu instid0(VALU_DEP_1)
	v_add3_u32 v18, v9, v18, 0x7fff
; %bb.449:
	s_and_not1_saveexec_b32 s6, s6
; %bb.450:
	v_and_b32_e32 v18, 0xffff, v9
	v_or_b32_e32 v19, 0x10000, v9
	s_delay_alu instid0(VALU_DEP_2) | instskip(NEXT) | instid1(VALU_DEP_2)
	v_cmp_eq_u32_e32 vcc_lo, 0, v18
	v_cndmask_b32_e32 v18, v19, v9, vcc_lo
; %bb.451:
	s_or_b32 exec_lo, exec_lo, s6
	v_mul_lo_u32 v19, v17, s17
	s_ashr_i32 s6, s14, 31
	v_add_co_u32 v21, s7, s14, v53
	s_delay_alu instid0(VALU_DEP_1) | instskip(NEXT) | instid1(VALU_DEP_3)
	v_add_co_ci_u32_e64 v22, null, s6, 0, s7
	v_ashrrev_i32_e32 v20, 31, v19
	s_delay_alu instid0(VALU_DEP_2) | instskip(NEXT) | instid1(VALU_DEP_2)
	v_lshlrev_b64 v[21:22], 1, v[21:22]
	v_lshlrev_b64 v[19:20], 1, v[19:20]
	s_delay_alu instid0(VALU_DEP_1) | instskip(NEXT) | instid1(VALU_DEP_2)
	v_add_co_u32 v19, vcc_lo, s2, v19
	v_add_co_ci_u32_e32 v20, vcc_lo, s3, v20, vcc_lo
	s_delay_alu instid0(VALU_DEP_2) | instskip(NEXT) | instid1(VALU_DEP_2)
	v_add_co_u32 v19, vcc_lo, v19, v21
	v_add_co_ci_u32_e32 v20, vcc_lo, v20, v22, vcc_lo
	global_store_d16_hi_b16 v[19:20], v18, off offset:64
.LBB11_452:
	s_or_b32 exec_lo, exec_lo, s5
	v_or_b32_e32 v19, 2, v17
	s_mov_b32 s5, exec_lo
	s_delay_alu instid0(VALU_DEP_1)
	v_cmpx_gt_i32_e64 s16, v19
	s_cbranch_execz .LBB11_458
; %bb.453:
	s_waitcnt lgkmcnt(1)
	v_and_b32_e32 v18, 0x7f800000, v10
	s_delay_alu instid0(VALU_DEP_1) | instskip(SKIP_1) | instid1(SALU_CYCLE_1)
	v_cmp_ne_u32_e32 vcc_lo, 0x7f800000, v18
                                        ; implicit-def: $vgpr18
	s_and_saveexec_b32 s6, vcc_lo
	s_xor_b32 s6, exec_lo, s6
; %bb.454:
	v_bfe_u32 v18, v10, 16, 1
	s_delay_alu instid0(VALU_DEP_1)
	v_add3_u32 v18, v10, v18, 0x7fff
; %bb.455:
	s_and_not1_saveexec_b32 s6, s6
; %bb.456:
	v_and_b32_e32 v18, 0xffff, v10
	v_or_b32_e32 v20, 0x10000, v10
	s_delay_alu instid0(VALU_DEP_2) | instskip(NEXT) | instid1(VALU_DEP_2)
	v_cmp_eq_u32_e32 vcc_lo, 0, v18
	v_cndmask_b32_e32 v18, v20, v10, vcc_lo
; %bb.457:
	s_or_b32 exec_lo, exec_lo, s6
	v_mul_lo_u32 v19, v19, s17
	s_ashr_i32 s6, s14, 31
	v_add_co_u32 v21, s7, s14, v53
	s_delay_alu instid0(VALU_DEP_1) | instskip(NEXT) | instid1(VALU_DEP_3)
	v_add_co_ci_u32_e64 v22, null, s6, 0, s7
	v_ashrrev_i32_e32 v20, 31, v19
	s_delay_alu instid0(VALU_DEP_2) | instskip(NEXT) | instid1(VALU_DEP_2)
	v_lshlrev_b64 v[21:22], 1, v[21:22]
	v_lshlrev_b64 v[19:20], 1, v[19:20]
	s_delay_alu instid0(VALU_DEP_1) | instskip(NEXT) | instid1(VALU_DEP_2)
	v_add_co_u32 v19, vcc_lo, s2, v19
	v_add_co_ci_u32_e32 v20, vcc_lo, s3, v20, vcc_lo
	s_delay_alu instid0(VALU_DEP_2) | instskip(NEXT) | instid1(VALU_DEP_2)
	v_add_co_u32 v19, vcc_lo, v19, v21
	v_add_co_ci_u32_e32 v20, vcc_lo, v20, v22, vcc_lo
	global_store_d16_hi_b16 v[19:20], v18, off offset:64
.LBB11_458:
	s_or_b32 exec_lo, exec_lo, s5
	;; [unrolled: 45-line block ×7, first 2 shown]
	s_waitcnt lgkmcnt(1)
	v_or_b32_e32 v18, 14, v17
	s_delay_alu instid0(VALU_DEP_1)
	v_cmp_gt_i32_e32 vcc_lo, s16, v18
	s_and_b32 exec_lo, exec_lo, vcc_lo
	s_cbranch_execz .LBB11_494
; %bb.489:
	v_and_b32_e32 v17, 0x7f800000, v16
	s_delay_alu instid0(VALU_DEP_1) | instskip(SKIP_1) | instid1(SALU_CYCLE_1)
	v_cmp_ne_u32_e32 vcc_lo, 0x7f800000, v17
                                        ; implicit-def: $vgpr17
	s_and_saveexec_b32 s5, vcc_lo
	s_xor_b32 s5, exec_lo, s5
; %bb.490:
	v_bfe_u32 v17, v16, 16, 1
	s_delay_alu instid0(VALU_DEP_1)
	v_add3_u32 v17, v16, v17, 0x7fff
; %bb.491:
	s_and_not1_saveexec_b32 s5, s5
; %bb.492:
	v_and_b32_e32 v17, 0xffff, v16
	v_or_b32_e32 v19, 0x10000, v16
	s_delay_alu instid0(VALU_DEP_2) | instskip(NEXT) | instid1(VALU_DEP_2)
	v_cmp_eq_u32_e32 vcc_lo, 0, v17
	v_cndmask_b32_e32 v17, v19, v16, vcc_lo
; %bb.493:
	s_or_b32 exec_lo, exec_lo, s5
	v_mul_lo_u32 v18, v18, s17
	s_ashr_i32 s5, s14, 31
	v_add_co_u32 v20, s6, s14, v53
	s_delay_alu instid0(VALU_DEP_1) | instskip(NEXT) | instid1(VALU_DEP_3)
	v_add_co_ci_u32_e64 v21, null, s5, 0, s6
	v_ashrrev_i32_e32 v19, 31, v18
	s_delay_alu instid0(VALU_DEP_2) | instskip(NEXT) | instid1(VALU_DEP_2)
	v_lshlrev_b64 v[20:21], 1, v[20:21]
	v_lshlrev_b64 v[18:19], 1, v[18:19]
	s_delay_alu instid0(VALU_DEP_1) | instskip(NEXT) | instid1(VALU_DEP_2)
	v_add_co_u32 v18, vcc_lo, s2, v18
	v_add_co_ci_u32_e32 v19, vcc_lo, s3, v19, vcc_lo
	s_delay_alu instid0(VALU_DEP_2) | instskip(NEXT) | instid1(VALU_DEP_2)
	v_add_co_u32 v18, vcc_lo, v18, v20
	v_add_co_ci_u32_e32 v19, vcc_lo, v19, v21, vcc_lo
	global_store_d16_hi_b16 v[18:19], v17, off offset:64
.LBB11_494:
	s_or_b32 exec_lo, exec_lo, s1
	s_cbranch_execnz .LBB11_21
.LBB11_495:
	v_mbcnt_lo_u32_b32 v17, -1, 0
	v_or_b32_e32 v21, s0, v53
	s_waitcnt lgkmcnt(1)
	s_delay_alu instid0(VALU_DEP_2) | instskip(NEXT) | instid1(VALU_DEP_1)
	v_xor_b32_e32 v18, 1, v17
	v_cmp_gt_i32_e32 vcc_lo, 32, v18
	v_dual_cndmask_b32 v17, v17, v18 :: v_dual_and_b32 v18, 1, v0
	s_delay_alu instid0(VALU_DEP_1) | instskip(NEXT) | instid1(VALU_DEP_2)
	v_lshlrev_b32_e32 v22, 2, v17
	v_cmp_eq_u32_e32 vcc_lo, 0, v18
	ds_bpermute_b32 v17, v22, v9
	s_and_saveexec_b32 s5, vcc_lo
	s_cbranch_execz .LBB11_515
; %bb.496:
	v_or_b32_e32 v18, v55, v54
	v_cmp_gt_i32_e64 s1, s17, v21
	s_delay_alu instid0(VALU_DEP_2) | instskip(NEXT) | instid1(VALU_DEP_1)
	v_cmp_gt_i32_e64 s0, s16, v18
	s_and_b32 s0, s0, s1
	s_delay_alu instid0(SALU_CYCLE_1)
	s_and_b32 exec_lo, exec_lo, s0
	s_cbranch_execz .LBB11_515
; %bb.497:
	v_and_b32_e32 v19, 0x7f800000, v9
	s_delay_alu instid0(VALU_DEP_1) | instskip(NEXT) | instid1(VALU_DEP_1)
	v_cmp_ne_u32_e64 s0, 0x7f800000, v19
                                        ; implicit-def: $vgpr19
	s_and_saveexec_b32 s1, s0
	s_delay_alu instid0(SALU_CYCLE_1)
	s_xor_b32 s0, exec_lo, s1
; %bb.498:
	v_bfe_u32 v19, v9, 16, 1
	s_delay_alu instid0(VALU_DEP_1)
	v_add3_u32 v19, v9, v19, 0x7fff
; %bb.499:
	s_and_not1_saveexec_b32 s1, s0
; %bb.500:
	v_and_b32_e32 v19, 0xffff, v9
	v_or_b32_e32 v20, 0x10000, v9
	s_delay_alu instid0(VALU_DEP_2) | instskip(NEXT) | instid1(VALU_DEP_1)
	v_cmp_eq_u32_e64 s0, 0, v19
	v_cndmask_b32_e64 v19, v20, v9, s0
; %bb.501:
	s_or_b32 exec_lo, exec_lo, s1
	s_waitcnt lgkmcnt(0)
	v_and_b32_e32 v9, 0x7f800000, v17
                                        ; implicit-def: $vgpr23
	s_delay_alu instid0(VALU_DEP_1) | instskip(NEXT) | instid1(VALU_DEP_1)
	v_cmp_ne_u32_e64 s0, 0x7f800000, v9
	s_and_saveexec_b32 s1, s0
	s_delay_alu instid0(SALU_CYCLE_1)
	s_xor_b32 s0, exec_lo, s1
; %bb.502:
	v_bfe_u32 v9, v17, 16, 1
	s_delay_alu instid0(VALU_DEP_1)
	v_add3_u32 v23, v17, v9, 0x7fff
                                        ; implicit-def: $vgpr17
; %bb.503:
	s_and_not1_saveexec_b32 s1, s0
; %bb.504:
	v_and_b32_e32 v9, 0xffff, v17
	v_or_b32_e32 v20, 0x10000, v17
	s_delay_alu instid0(VALU_DEP_2) | instskip(NEXT) | instid1(VALU_DEP_1)
	v_cmp_eq_u32_e64 s0, 0, v9
	v_cndmask_b32_e64 v23, v20, v17, s0
; %bb.505:
	s_or_b32 exec_lo, exec_lo, s1
	v_mul_lo_u32 v17, v18, s17
	s_ashr_i32 s0, s14, 31
	v_add_co_u32 v24, s1, s14, v53
	s_delay_alu instid0(VALU_DEP_1) | instskip(SKIP_2) | instid1(VALU_DEP_4)
	v_add_co_ci_u32_e64 v25, null, s0, 0, s1
	v_and_b32_e32 v23, 0xffff0000, v23
	s_mov_b32 s1, 0
	v_ashrrev_i32_e32 v18, 31, v17
	s_delay_alu instid0(VALU_DEP_3) | instskip(NEXT) | instid1(VALU_DEP_2)
	v_lshlrev_b64 v[24:25], 1, v[24:25]
	v_lshlrev_b64 v[17:18], 1, v[17:18]
	s_delay_alu instid0(VALU_DEP_1) | instskip(NEXT) | instid1(VALU_DEP_1)
	v_add_co_u32 v9, s0, s2, v17
	v_add_co_ci_u32_e64 v18, s0, s3, v18, s0
	s_delay_alu instid0(VALU_DEP_2) | instskip(NEXT) | instid1(VALU_DEP_1)
	v_add_co_u32 v17, s0, v9, v24
	v_add_co_ci_u32_e64 v18, s0, v18, v25, s0
	v_and_b32_e32 v9, 0xffff0000, v19
	global_load_b32 v20, v[17:18], off offset:64
	s_branch .LBB11_507
.LBB11_506:                             ;   in Loop: Header=BB11_507 Depth=1
	s_or_b32 exec_lo, exec_lo, s6
	v_lshrrev_b32_e32 v19, 16, v19
	s_delay_alu instid0(VALU_DEP_1) | instskip(SKIP_4) | instid1(VALU_DEP_2)
	v_and_or_b32 v19, 0xffff0000, v25, v19
	global_atomic_cmpswap_b32 v19, v[17:18], v[19:20], off offset:64 glc
	s_waitcnt vmcnt(0)
	v_cmp_eq_u32_e64 s0, v19, v20
	v_mov_b32_e32 v20, v19
	s_or_b32 s1, s0, s1
	s_delay_alu instid0(SALU_CYCLE_1)
	s_and_not1_b32 exec_lo, exec_lo, s1
	s_cbranch_execz .LBB11_515
.LBB11_507:                             ; =>This Inner Loop Header: Depth=1
	s_waitcnt vmcnt(0)
	v_lshlrev_b32_e32 v19, 16, v20
	s_delay_alu instid0(VALU_DEP_1) | instskip(NEXT) | instid1(VALU_DEP_1)
	v_add_f32_e32 v24, v9, v19
	v_and_b32_e32 v19, 0x7f800000, v24
	s_delay_alu instid0(VALU_DEP_1) | instskip(NEXT) | instid1(VALU_DEP_1)
	v_cmp_ne_u32_e64 s0, 0x7f800000, v19
                                        ; implicit-def: $vgpr19
	s_and_saveexec_b32 s6, s0
	s_delay_alu instid0(SALU_CYCLE_1)
	s_xor_b32 s0, exec_lo, s6
; %bb.508:                              ;   in Loop: Header=BB11_507 Depth=1
	v_bfe_u32 v19, v24, 16, 1
	s_delay_alu instid0(VALU_DEP_1)
	v_add3_u32 v19, v24, v19, 0x7fff
                                        ; implicit-def: $vgpr24
; %bb.509:                              ;   in Loop: Header=BB11_507 Depth=1
	s_and_not1_saveexec_b32 s6, s0
; %bb.510:                              ;   in Loop: Header=BB11_507 Depth=1
	v_and_b32_e32 v19, 0xffff, v24
	v_or_b32_e32 v25, 0x10000, v24
	s_delay_alu instid0(VALU_DEP_2) | instskip(NEXT) | instid1(VALU_DEP_1)
	v_cmp_eq_u32_e64 s0, 0, v19
	v_cndmask_b32_e64 v19, v25, v24, s0
; %bb.511:                              ;   in Loop: Header=BB11_507 Depth=1
	s_or_b32 exec_lo, exec_lo, s6
	v_and_b32_e32 v24, 0xffff0000, v20
	s_delay_alu instid0(VALU_DEP_1) | instskip(NEXT) | instid1(VALU_DEP_1)
	v_add_f32_e32 v24, v23, v24
	v_and_b32_e32 v25, 0x7f800000, v24
	s_delay_alu instid0(VALU_DEP_1) | instskip(NEXT) | instid1(VALU_DEP_1)
	v_cmp_ne_u32_e64 s0, 0x7f800000, v25
                                        ; implicit-def: $vgpr25
	s_and_saveexec_b32 s6, s0
	s_delay_alu instid0(SALU_CYCLE_1)
	s_xor_b32 s0, exec_lo, s6
; %bb.512:                              ;   in Loop: Header=BB11_507 Depth=1
	v_bfe_u32 v25, v24, 16, 1
	s_delay_alu instid0(VALU_DEP_1)
	v_add3_u32 v25, v24, v25, 0x7fff
                                        ; implicit-def: $vgpr24
; %bb.513:                              ;   in Loop: Header=BB11_507 Depth=1
	s_and_not1_saveexec_b32 s6, s0
	s_cbranch_execz .LBB11_506
; %bb.514:                              ;   in Loop: Header=BB11_507 Depth=1
	v_and_b32_e32 v25, 0xffff, v24
	v_or_b32_e32 v26, 0x10000, v24
	s_delay_alu instid0(VALU_DEP_2) | instskip(NEXT) | instid1(VALU_DEP_1)
	v_cmp_eq_u32_e64 s0, 0, v25
	v_cndmask_b32_e64 v25, v26, v24, s0
	s_branch .LBB11_506
.LBB11_515:
	s_or_b32 exec_lo, exec_lo, s5
	ds_bpermute_b32 v18, v22, v10
	s_and_saveexec_b32 s5, vcc_lo
	s_cbranch_execz .LBB11_535
; %bb.516:
	v_or3_b32 v9, v54, v55, 2
	v_cmp_gt_i32_e64 s1, s17, v21
	s_delay_alu instid0(VALU_DEP_2) | instskip(NEXT) | instid1(VALU_DEP_1)
	v_cmp_gt_i32_e64 s0, s16, v9
	s_and_b32 s0, s0, s1
	s_delay_alu instid0(SALU_CYCLE_1)
	s_and_b32 exec_lo, exec_lo, s0
	s_cbranch_execz .LBB11_535
; %bb.517:
	s_waitcnt lgkmcnt(1)
	v_and_b32_e32 v17, 0x7f800000, v10
	s_delay_alu instid0(VALU_DEP_1) | instskip(NEXT) | instid1(VALU_DEP_1)
	v_cmp_ne_u32_e64 s0, 0x7f800000, v17
                                        ; implicit-def: $vgpr17
	s_and_saveexec_b32 s1, s0
	s_delay_alu instid0(SALU_CYCLE_1)
	s_xor_b32 s0, exec_lo, s1
; %bb.518:
	v_bfe_u32 v17, v10, 16, 1
	s_delay_alu instid0(VALU_DEP_1)
	v_add3_u32 v17, v10, v17, 0x7fff
; %bb.519:
	s_and_not1_saveexec_b32 s1, s0
; %bb.520:
	v_and_b32_e32 v17, 0xffff, v10
	v_or_b32_e32 v19, 0x10000, v10
	s_delay_alu instid0(VALU_DEP_2) | instskip(NEXT) | instid1(VALU_DEP_1)
	v_cmp_eq_u32_e64 s0, 0, v17
	v_cndmask_b32_e64 v17, v19, v10, s0
; %bb.521:
	s_or_b32 exec_lo, exec_lo, s1
	s_waitcnt lgkmcnt(0)
	v_and_b32_e32 v10, 0x7f800000, v18
                                        ; implicit-def: $vgpr20
	s_delay_alu instid0(VALU_DEP_1) | instskip(NEXT) | instid1(VALU_DEP_1)
	v_cmp_ne_u32_e64 s0, 0x7f800000, v10
	s_and_saveexec_b32 s1, s0
	s_delay_alu instid0(SALU_CYCLE_1)
	s_xor_b32 s0, exec_lo, s1
; %bb.522:
	v_bfe_u32 v10, v18, 16, 1
	s_delay_alu instid0(VALU_DEP_1)
	v_add3_u32 v20, v18, v10, 0x7fff
                                        ; implicit-def: $vgpr18
; %bb.523:
	s_and_not1_saveexec_b32 s1, s0
; %bb.524:
	v_and_b32_e32 v10, 0xffff, v18
	v_or_b32_e32 v19, 0x10000, v18
	s_delay_alu instid0(VALU_DEP_2) | instskip(NEXT) | instid1(VALU_DEP_1)
	v_cmp_eq_u32_e64 s0, 0, v10
	v_cndmask_b32_e64 v20, v19, v18, s0
; %bb.525:
	s_or_b32 exec_lo, exec_lo, s1
	v_mul_lo_u32 v9, v9, s17
	s_ashr_i32 s0, s14, 31
	v_add_co_u32 v18, s1, s14, v53
	s_delay_alu instid0(VALU_DEP_1) | instskip(SKIP_2) | instid1(VALU_DEP_4)
	v_add_co_ci_u32_e64 v19, null, s0, 0, s1
	v_and_b32_e32 v20, 0xffff0000, v20
	s_mov_b32 s1, 0
	v_ashrrev_i32_e32 v10, 31, v9
	s_delay_alu instid0(VALU_DEP_3) | instskip(NEXT) | instid1(VALU_DEP_2)
	v_lshlrev_b64 v[18:19], 1, v[18:19]
	v_lshlrev_b64 v[9:10], 1, v[9:10]
	s_delay_alu instid0(VALU_DEP_1) | instskip(NEXT) | instid1(VALU_DEP_1)
	v_add_co_u32 v9, s0, s2, v9
	v_add_co_ci_u32_e64 v10, s0, s3, v10, s0
	s_delay_alu instid0(VALU_DEP_2) | instskip(NEXT) | instid1(VALU_DEP_1)
	v_add_co_u32 v9, s0, v9, v18
	v_add_co_ci_u32_e64 v10, s0, v10, v19, s0
	v_and_b32_e32 v19, 0xffff0000, v17
	global_load_b32 v18, v[9:10], off offset:64
	s_branch .LBB11_527
.LBB11_526:                             ;   in Loop: Header=BB11_527 Depth=1
	s_or_b32 exec_lo, exec_lo, s6
	v_lshrrev_b32_e32 v17, 16, v17
	s_delay_alu instid0(VALU_DEP_1) | instskip(SKIP_4) | instid1(VALU_DEP_2)
	v_and_or_b32 v17, 0xffff0000, v24, v17
	global_atomic_cmpswap_b32 v17, v[9:10], v[17:18], off offset:64 glc
	s_waitcnt vmcnt(0)
	v_cmp_eq_u32_e64 s0, v17, v18
	v_mov_b32_e32 v18, v17
	s_or_b32 s1, s0, s1
	s_delay_alu instid0(SALU_CYCLE_1)
	s_and_not1_b32 exec_lo, exec_lo, s1
	s_cbranch_execz .LBB11_535
.LBB11_527:                             ; =>This Inner Loop Header: Depth=1
	s_waitcnt vmcnt(0)
	v_lshlrev_b32_e32 v17, 16, v18
	s_delay_alu instid0(VALU_DEP_1) | instskip(NEXT) | instid1(VALU_DEP_1)
	v_add_f32_e32 v23, v19, v17
	v_and_b32_e32 v17, 0x7f800000, v23
	s_delay_alu instid0(VALU_DEP_1) | instskip(NEXT) | instid1(VALU_DEP_1)
	v_cmp_ne_u32_e64 s0, 0x7f800000, v17
                                        ; implicit-def: $vgpr17
	s_and_saveexec_b32 s6, s0
	s_delay_alu instid0(SALU_CYCLE_1)
	s_xor_b32 s0, exec_lo, s6
; %bb.528:                              ;   in Loop: Header=BB11_527 Depth=1
	v_bfe_u32 v17, v23, 16, 1
	s_delay_alu instid0(VALU_DEP_1)
	v_add3_u32 v17, v23, v17, 0x7fff
                                        ; implicit-def: $vgpr23
; %bb.529:                              ;   in Loop: Header=BB11_527 Depth=1
	s_and_not1_saveexec_b32 s6, s0
; %bb.530:                              ;   in Loop: Header=BB11_527 Depth=1
	v_and_b32_e32 v17, 0xffff, v23
	v_or_b32_e32 v24, 0x10000, v23
	s_delay_alu instid0(VALU_DEP_2) | instskip(NEXT) | instid1(VALU_DEP_1)
	v_cmp_eq_u32_e64 s0, 0, v17
	v_cndmask_b32_e64 v17, v24, v23, s0
; %bb.531:                              ;   in Loop: Header=BB11_527 Depth=1
	s_or_b32 exec_lo, exec_lo, s6
	v_and_b32_e32 v23, 0xffff0000, v18
	s_delay_alu instid0(VALU_DEP_1) | instskip(NEXT) | instid1(VALU_DEP_1)
	v_add_f32_e32 v23, v20, v23
	v_and_b32_e32 v24, 0x7f800000, v23
	s_delay_alu instid0(VALU_DEP_1) | instskip(NEXT) | instid1(VALU_DEP_1)
	v_cmp_ne_u32_e64 s0, 0x7f800000, v24
                                        ; implicit-def: $vgpr24
	s_and_saveexec_b32 s6, s0
	s_delay_alu instid0(SALU_CYCLE_1)
	s_xor_b32 s0, exec_lo, s6
; %bb.532:                              ;   in Loop: Header=BB11_527 Depth=1
	v_bfe_u32 v24, v23, 16, 1
	s_delay_alu instid0(VALU_DEP_1)
	v_add3_u32 v24, v23, v24, 0x7fff
                                        ; implicit-def: $vgpr23
; %bb.533:                              ;   in Loop: Header=BB11_527 Depth=1
	s_and_not1_saveexec_b32 s6, s0
	s_cbranch_execz .LBB11_526
; %bb.534:                              ;   in Loop: Header=BB11_527 Depth=1
	v_and_b32_e32 v24, 0xffff, v23
	v_or_b32_e32 v25, 0x10000, v23
	s_delay_alu instid0(VALU_DEP_2) | instskip(NEXT) | instid1(VALU_DEP_1)
	v_cmp_eq_u32_e64 s0, 0, v24
	v_cndmask_b32_e64 v24, v25, v23, s0
	s_branch .LBB11_526
.LBB11_535:
	s_or_b32 exec_lo, exec_lo, s5
	ds_bpermute_b32 v10, v22, v11
	s_and_saveexec_b32 s5, vcc_lo
	s_cbranch_execz .LBB11_555
; %bb.536:
	v_or3_b32 v9, v54, v55, 4
	v_cmp_gt_i32_e64 s1, s17, v21
	s_delay_alu instid0(VALU_DEP_2) | instskip(NEXT) | instid1(VALU_DEP_1)
	v_cmp_gt_i32_e64 s0, s16, v9
	s_and_b32 s0, s0, s1
	s_delay_alu instid0(SALU_CYCLE_1)
	s_and_b32 exec_lo, exec_lo, s0
	s_cbranch_execz .LBB11_555
; %bb.537:
	s_waitcnt lgkmcnt(2)
	v_and_b32_e32 v17, 0x7f800000, v11
	s_delay_alu instid0(VALU_DEP_1) | instskip(NEXT) | instid1(VALU_DEP_1)
	v_cmp_ne_u32_e64 s0, 0x7f800000, v17
                                        ; implicit-def: $vgpr17
	s_and_saveexec_b32 s1, s0
	s_delay_alu instid0(SALU_CYCLE_1)
	s_xor_b32 s0, exec_lo, s1
; %bb.538:
	v_bfe_u32 v17, v11, 16, 1
	s_delay_alu instid0(VALU_DEP_1)
	v_add3_u32 v17, v11, v17, 0x7fff
; %bb.539:
	s_and_not1_saveexec_b32 s1, s0
	s_cbranch_execz .LBB11_541
; %bb.540:
	v_and_b32_e32 v17, 0xffff, v11
	s_waitcnt lgkmcnt(1)
	v_or_b32_e32 v18, 0x10000, v11
	s_delay_alu instid0(VALU_DEP_2) | instskip(NEXT) | instid1(VALU_DEP_1)
	v_cmp_eq_u32_e64 s0, 0, v17
	v_cndmask_b32_e64 v17, v18, v11, s0
.LBB11_541:
	s_or_b32 exec_lo, exec_lo, s1
	s_waitcnt lgkmcnt(0)
	v_and_b32_e32 v11, 0x7f800000, v10
                                        ; implicit-def: $vgpr19
	s_delay_alu instid0(VALU_DEP_1) | instskip(NEXT) | instid1(VALU_DEP_1)
	v_cmp_ne_u32_e64 s0, 0x7f800000, v11
	s_and_saveexec_b32 s1, s0
	s_delay_alu instid0(SALU_CYCLE_1)
	s_xor_b32 s0, exec_lo, s1
; %bb.542:
	v_bfe_u32 v11, v10, 16, 1
	s_delay_alu instid0(VALU_DEP_1)
	v_add3_u32 v19, v10, v11, 0x7fff
                                        ; implicit-def: $vgpr10
; %bb.543:
	s_and_not1_saveexec_b32 s1, s0
; %bb.544:
	v_and_b32_e32 v11, 0xffff, v10
	v_or_b32_e32 v18, 0x10000, v10
	s_delay_alu instid0(VALU_DEP_2) | instskip(NEXT) | instid1(VALU_DEP_1)
	v_cmp_eq_u32_e64 s0, 0, v11
	v_cndmask_b32_e64 v19, v18, v10, s0
; %bb.545:
	s_or_b32 exec_lo, exec_lo, s1
	v_mul_lo_u32 v9, v9, s17
	s_ashr_i32 s0, s14, 31
	v_add_co_u32 v23, s1, s14, v53
	s_delay_alu instid0(VALU_DEP_1) | instskip(SKIP_3) | instid1(VALU_DEP_4)
	v_add_co_ci_u32_e64 v24, null, s0, 0, s1
	v_and_b32_e32 v11, 0xffff0000, v17
	v_and_b32_e32 v19, 0xffff0000, v19
	v_ashrrev_i32_e32 v10, 31, v9
	v_lshlrev_b64 v[23:24], 1, v[23:24]
	s_mov_b32 s1, 0
	s_delay_alu instid0(VALU_DEP_2) | instskip(NEXT) | instid1(VALU_DEP_1)
	v_lshlrev_b64 v[9:10], 1, v[9:10]
	v_add_co_u32 v9, s0, s2, v9
	s_delay_alu instid0(VALU_DEP_1) | instskip(NEXT) | instid1(VALU_DEP_2)
	v_add_co_ci_u32_e64 v10, s0, s3, v10, s0
	v_add_co_u32 v9, s0, v9, v23
	s_delay_alu instid0(VALU_DEP_1)
	v_add_co_ci_u32_e64 v10, s0, v10, v24, s0
	global_load_b32 v18, v[9:10], off offset:64
	s_branch .LBB11_547
.LBB11_546:                             ;   in Loop: Header=BB11_547 Depth=1
	s_or_b32 exec_lo, exec_lo, s6
	v_lshrrev_b32_e32 v17, 16, v17
	s_delay_alu instid0(VALU_DEP_1) | instskip(SKIP_4) | instid1(VALU_DEP_2)
	v_and_or_b32 v17, 0xffff0000, v23, v17
	global_atomic_cmpswap_b32 v17, v[9:10], v[17:18], off offset:64 glc
	s_waitcnt vmcnt(0)
	v_cmp_eq_u32_e64 s0, v17, v18
	v_mov_b32_e32 v18, v17
	s_or_b32 s1, s0, s1
	s_delay_alu instid0(SALU_CYCLE_1)
	s_and_not1_b32 exec_lo, exec_lo, s1
	s_cbranch_execz .LBB11_555
.LBB11_547:                             ; =>This Inner Loop Header: Depth=1
	s_waitcnt vmcnt(0)
	v_lshlrev_b32_e32 v17, 16, v18
	s_delay_alu instid0(VALU_DEP_1) | instskip(NEXT) | instid1(VALU_DEP_1)
	v_add_f32_e32 v20, v11, v17
	v_and_b32_e32 v17, 0x7f800000, v20
	s_delay_alu instid0(VALU_DEP_1) | instskip(NEXT) | instid1(VALU_DEP_1)
	v_cmp_ne_u32_e64 s0, 0x7f800000, v17
                                        ; implicit-def: $vgpr17
	s_and_saveexec_b32 s6, s0
	s_delay_alu instid0(SALU_CYCLE_1)
	s_xor_b32 s0, exec_lo, s6
; %bb.548:                              ;   in Loop: Header=BB11_547 Depth=1
	v_bfe_u32 v17, v20, 16, 1
	s_delay_alu instid0(VALU_DEP_1)
	v_add3_u32 v17, v20, v17, 0x7fff
                                        ; implicit-def: $vgpr20
; %bb.549:                              ;   in Loop: Header=BB11_547 Depth=1
	s_and_not1_saveexec_b32 s6, s0
; %bb.550:                              ;   in Loop: Header=BB11_547 Depth=1
	v_and_b32_e32 v17, 0xffff, v20
	v_or_b32_e32 v23, 0x10000, v20
	s_delay_alu instid0(VALU_DEP_2) | instskip(NEXT) | instid1(VALU_DEP_1)
	v_cmp_eq_u32_e64 s0, 0, v17
	v_cndmask_b32_e64 v17, v23, v20, s0
; %bb.551:                              ;   in Loop: Header=BB11_547 Depth=1
	s_or_b32 exec_lo, exec_lo, s6
	v_and_b32_e32 v20, 0xffff0000, v18
	s_delay_alu instid0(VALU_DEP_1) | instskip(NEXT) | instid1(VALU_DEP_1)
	v_add_f32_e32 v20, v19, v20
	v_and_b32_e32 v23, 0x7f800000, v20
	s_delay_alu instid0(VALU_DEP_1) | instskip(NEXT) | instid1(VALU_DEP_1)
	v_cmp_ne_u32_e64 s0, 0x7f800000, v23
                                        ; implicit-def: $vgpr23
	s_and_saveexec_b32 s6, s0
	s_delay_alu instid0(SALU_CYCLE_1)
	s_xor_b32 s0, exec_lo, s6
; %bb.552:                              ;   in Loop: Header=BB11_547 Depth=1
	v_bfe_u32 v23, v20, 16, 1
	s_delay_alu instid0(VALU_DEP_1)
	v_add3_u32 v23, v20, v23, 0x7fff
                                        ; implicit-def: $vgpr20
; %bb.553:                              ;   in Loop: Header=BB11_547 Depth=1
	s_and_not1_saveexec_b32 s6, s0
	s_cbranch_execz .LBB11_546
; %bb.554:                              ;   in Loop: Header=BB11_547 Depth=1
	v_and_b32_e32 v23, 0xffff, v20
	v_or_b32_e32 v24, 0x10000, v20
	s_delay_alu instid0(VALU_DEP_2) | instskip(NEXT) | instid1(VALU_DEP_1)
	v_cmp_eq_u32_e64 s0, 0, v23
	v_cndmask_b32_e64 v23, v24, v20, s0
	s_branch .LBB11_546
.LBB11_555:
	s_or_b32 exec_lo, exec_lo, s5
	s_waitcnt lgkmcnt(0)
	ds_bpermute_b32 v10, v22, v12
	s_and_saveexec_b32 s5, vcc_lo
	s_cbranch_execz .LBB11_575
; %bb.556:
	v_or3_b32 v9, v54, v55, 6
	v_cmp_gt_i32_e64 s1, s17, v21
	s_delay_alu instid0(VALU_DEP_2) | instskip(NEXT) | instid1(VALU_DEP_1)
	v_cmp_gt_i32_e64 s0, s16, v9
	s_and_b32 s0, s0, s1
	s_delay_alu instid0(SALU_CYCLE_1)
	s_and_b32 exec_lo, exec_lo, s0
	s_cbranch_execz .LBB11_575
; %bb.557:
	v_and_b32_e32 v11, 0x7f800000, v12
	s_delay_alu instid0(VALU_DEP_1) | instskip(NEXT) | instid1(VALU_DEP_1)
	v_cmp_ne_u32_e64 s0, 0x7f800000, v11
                                        ; implicit-def: $vgpr11
	s_and_saveexec_b32 s1, s0
	s_delay_alu instid0(SALU_CYCLE_1)
	s_xor_b32 s0, exec_lo, s1
; %bb.558:
	v_bfe_u32 v11, v12, 16, 1
	s_delay_alu instid0(VALU_DEP_1)
	v_add3_u32 v11, v12, v11, 0x7fff
; %bb.559:
	s_and_not1_saveexec_b32 s1, s0
; %bb.560:
	v_and_b32_e32 v11, 0xffff, v12
	v_or_b32_e32 v17, 0x10000, v12
	s_delay_alu instid0(VALU_DEP_2) | instskip(NEXT) | instid1(VALU_DEP_1)
	v_cmp_eq_u32_e64 s0, 0, v11
	v_cndmask_b32_e64 v11, v17, v12, s0
; %bb.561:
	s_or_b32 exec_lo, exec_lo, s1
	s_waitcnt lgkmcnt(0)
	v_and_b32_e32 v12, 0x7f800000, v10
                                        ; implicit-def: $vgpr18
	s_delay_alu instid0(VALU_DEP_1) | instskip(NEXT) | instid1(VALU_DEP_1)
	v_cmp_ne_u32_e64 s0, 0x7f800000, v12
	s_and_saveexec_b32 s1, s0
	s_delay_alu instid0(SALU_CYCLE_1)
	s_xor_b32 s0, exec_lo, s1
; %bb.562:
	v_bfe_u32 v12, v10, 16, 1
	s_delay_alu instid0(VALU_DEP_1)
	v_add3_u32 v18, v10, v12, 0x7fff
                                        ; implicit-def: $vgpr10
; %bb.563:
	s_and_not1_saveexec_b32 s1, s0
; %bb.564:
	v_and_b32_e32 v12, 0xffff, v10
	v_or_b32_e32 v17, 0x10000, v10
	s_delay_alu instid0(VALU_DEP_2) | instskip(NEXT) | instid1(VALU_DEP_1)
	v_cmp_eq_u32_e64 s0, 0, v12
	v_cndmask_b32_e64 v18, v17, v10, s0
; %bb.565:
	s_or_b32 exec_lo, exec_lo, s1
	v_mul_lo_u32 v9, v9, s17
	s_ashr_i32 s0, s14, 31
	v_add_co_u32 v19, s1, s14, v53
	s_delay_alu instid0(VALU_DEP_1) | instskip(SKIP_3) | instid1(VALU_DEP_4)
	v_add_co_ci_u32_e64 v20, null, s0, 0, s1
	v_and_b32_e32 v17, 0xffff0000, v11
	v_and_b32_e32 v18, 0xffff0000, v18
	v_ashrrev_i32_e32 v10, 31, v9
	v_lshlrev_b64 v[19:20], 1, v[19:20]
	s_mov_b32 s1, 0
	s_delay_alu instid0(VALU_DEP_2) | instskip(NEXT) | instid1(VALU_DEP_1)
	v_lshlrev_b64 v[9:10], 1, v[9:10]
	v_add_co_u32 v9, s0, s2, v9
	s_delay_alu instid0(VALU_DEP_1) | instskip(NEXT) | instid1(VALU_DEP_2)
	v_add_co_ci_u32_e64 v10, s0, s3, v10, s0
	v_add_co_u32 v9, s0, v9, v19
	s_delay_alu instid0(VALU_DEP_1)
	v_add_co_ci_u32_e64 v10, s0, v10, v20, s0
	global_load_b32 v12, v[9:10], off offset:64
	s_branch .LBB11_567
.LBB11_566:                             ;   in Loop: Header=BB11_567 Depth=1
	s_or_b32 exec_lo, exec_lo, s6
	v_lshrrev_b32_e32 v11, 16, v11
	s_delay_alu instid0(VALU_DEP_1) | instskip(SKIP_4) | instid1(VALU_DEP_2)
	v_and_or_b32 v11, 0xffff0000, v20, v11
	global_atomic_cmpswap_b32 v11, v[9:10], v[11:12], off offset:64 glc
	s_waitcnt vmcnt(0)
	v_cmp_eq_u32_e64 s0, v11, v12
	v_mov_b32_e32 v12, v11
	s_or_b32 s1, s0, s1
	s_delay_alu instid0(SALU_CYCLE_1)
	s_and_not1_b32 exec_lo, exec_lo, s1
	s_cbranch_execz .LBB11_575
.LBB11_567:                             ; =>This Inner Loop Header: Depth=1
	s_waitcnt vmcnt(0)
	v_lshlrev_b32_e32 v11, 16, v12
	s_delay_alu instid0(VALU_DEP_1) | instskip(NEXT) | instid1(VALU_DEP_1)
	v_add_f32_e32 v19, v17, v11
	v_and_b32_e32 v11, 0x7f800000, v19
	s_delay_alu instid0(VALU_DEP_1) | instskip(NEXT) | instid1(VALU_DEP_1)
	v_cmp_ne_u32_e64 s0, 0x7f800000, v11
                                        ; implicit-def: $vgpr11
	s_and_saveexec_b32 s6, s0
	s_delay_alu instid0(SALU_CYCLE_1)
	s_xor_b32 s0, exec_lo, s6
; %bb.568:                              ;   in Loop: Header=BB11_567 Depth=1
	v_bfe_u32 v11, v19, 16, 1
	s_delay_alu instid0(VALU_DEP_1)
	v_add3_u32 v11, v19, v11, 0x7fff
                                        ; implicit-def: $vgpr19
; %bb.569:                              ;   in Loop: Header=BB11_567 Depth=1
	s_and_not1_saveexec_b32 s6, s0
; %bb.570:                              ;   in Loop: Header=BB11_567 Depth=1
	v_and_b32_e32 v11, 0xffff, v19
	v_or_b32_e32 v20, 0x10000, v19
	s_delay_alu instid0(VALU_DEP_2) | instskip(NEXT) | instid1(VALU_DEP_1)
	v_cmp_eq_u32_e64 s0, 0, v11
	v_cndmask_b32_e64 v11, v20, v19, s0
; %bb.571:                              ;   in Loop: Header=BB11_567 Depth=1
	s_or_b32 exec_lo, exec_lo, s6
	v_and_b32_e32 v19, 0xffff0000, v12
	s_delay_alu instid0(VALU_DEP_1) | instskip(NEXT) | instid1(VALU_DEP_1)
	v_add_f32_e32 v19, v18, v19
	v_and_b32_e32 v20, 0x7f800000, v19
	s_delay_alu instid0(VALU_DEP_1) | instskip(NEXT) | instid1(VALU_DEP_1)
	v_cmp_ne_u32_e64 s0, 0x7f800000, v20
                                        ; implicit-def: $vgpr20
	s_and_saveexec_b32 s6, s0
	s_delay_alu instid0(SALU_CYCLE_1)
	s_xor_b32 s0, exec_lo, s6
; %bb.572:                              ;   in Loop: Header=BB11_567 Depth=1
	v_bfe_u32 v20, v19, 16, 1
	s_delay_alu instid0(VALU_DEP_1)
	v_add3_u32 v20, v19, v20, 0x7fff
                                        ; implicit-def: $vgpr19
; %bb.573:                              ;   in Loop: Header=BB11_567 Depth=1
	s_and_not1_saveexec_b32 s6, s0
	s_cbranch_execz .LBB11_566
; %bb.574:                              ;   in Loop: Header=BB11_567 Depth=1
	v_and_b32_e32 v20, 0xffff, v19
	v_or_b32_e32 v23, 0x10000, v19
	s_delay_alu instid0(VALU_DEP_2) | instskip(NEXT) | instid1(VALU_DEP_1)
	v_cmp_eq_u32_e64 s0, 0, v20
	v_cndmask_b32_e64 v20, v23, v19, s0
	s_branch .LBB11_566
.LBB11_575:
	s_or_b32 exec_lo, exec_lo, s5
	s_waitcnt lgkmcnt(0)
	ds_bpermute_b32 v10, v22, v13
	s_and_saveexec_b32 s5, vcc_lo
	s_cbranch_execz .LBB11_595
; %bb.576:
	v_or3_b32 v9, v54, v55, 8
	v_cmp_gt_i32_e64 s1, s17, v21
	s_delay_alu instid0(VALU_DEP_2) | instskip(NEXT) | instid1(VALU_DEP_1)
	v_cmp_gt_i32_e64 s0, s16, v9
	s_and_b32 s0, s0, s1
	s_delay_alu instid0(SALU_CYCLE_1)
	s_and_b32 exec_lo, exec_lo, s0
	s_cbranch_execz .LBB11_595
; %bb.577:
	v_and_b32_e32 v11, 0x7f800000, v13
	s_delay_alu instid0(VALU_DEP_1) | instskip(NEXT) | instid1(VALU_DEP_1)
	v_cmp_ne_u32_e64 s0, 0x7f800000, v11
                                        ; implicit-def: $vgpr11
	s_and_saveexec_b32 s1, s0
	s_delay_alu instid0(SALU_CYCLE_1)
	s_xor_b32 s0, exec_lo, s1
; %bb.578:
	v_bfe_u32 v11, v13, 16, 1
	s_delay_alu instid0(VALU_DEP_1)
	v_add3_u32 v11, v13, v11, 0x7fff
; %bb.579:
	s_and_not1_saveexec_b32 s1, s0
; %bb.580:
	v_and_b32_e32 v11, 0xffff, v13
	v_or_b32_e32 v12, 0x10000, v13
	s_delay_alu instid0(VALU_DEP_2) | instskip(NEXT) | instid1(VALU_DEP_1)
	v_cmp_eq_u32_e64 s0, 0, v11
	v_cndmask_b32_e64 v11, v12, v13, s0
; %bb.581:
	s_or_b32 exec_lo, exec_lo, s1
	s_waitcnt lgkmcnt(0)
	v_and_b32_e32 v12, 0x7f800000, v10
                                        ; implicit-def: $vgpr17
	s_delay_alu instid0(VALU_DEP_1) | instskip(NEXT) | instid1(VALU_DEP_1)
	v_cmp_ne_u32_e64 s0, 0x7f800000, v12
	s_and_saveexec_b32 s1, s0
	s_delay_alu instid0(SALU_CYCLE_1)
	s_xor_b32 s0, exec_lo, s1
; %bb.582:
	v_bfe_u32 v12, v10, 16, 1
	s_delay_alu instid0(VALU_DEP_1)
	v_add3_u32 v17, v10, v12, 0x7fff
                                        ; implicit-def: $vgpr10
; %bb.583:
	s_and_not1_saveexec_b32 s1, s0
; %bb.584:
	v_and_b32_e32 v12, 0xffff, v10
	v_or_b32_e32 v13, 0x10000, v10
	s_delay_alu instid0(VALU_DEP_2) | instskip(NEXT) | instid1(VALU_DEP_1)
	v_cmp_eq_u32_e64 s0, 0, v12
	v_cndmask_b32_e64 v17, v13, v10, s0
; %bb.585:
	s_or_b32 exec_lo, exec_lo, s1
	v_mul_lo_u32 v9, v9, s17
	s_ashr_i32 s0, s14, 31
	v_add_co_u32 v12, s1, s14, v53
	s_delay_alu instid0(VALU_DEP_1) | instskip(SKIP_2) | instid1(VALU_DEP_4)
	v_add_co_ci_u32_e64 v13, null, s0, 0, s1
	v_and_b32_e32 v17, 0xffff0000, v17
	s_mov_b32 s1, 0
	v_ashrrev_i32_e32 v10, 31, v9
	s_delay_alu instid0(VALU_DEP_3) | instskip(NEXT) | instid1(VALU_DEP_2)
	v_lshlrev_b64 v[12:13], 1, v[12:13]
	v_lshlrev_b64 v[9:10], 1, v[9:10]
	s_delay_alu instid0(VALU_DEP_1) | instskip(NEXT) | instid1(VALU_DEP_1)
	v_add_co_u32 v9, s0, s2, v9
	v_add_co_ci_u32_e64 v10, s0, s3, v10, s0
	s_delay_alu instid0(VALU_DEP_2) | instskip(NEXT) | instid1(VALU_DEP_1)
	v_add_co_u32 v9, s0, v9, v12
	v_add_co_ci_u32_e64 v10, s0, v10, v13, s0
	v_and_b32_e32 v13, 0xffff0000, v11
	global_load_b32 v12, v[9:10], off offset:64
	s_branch .LBB11_587
.LBB11_586:                             ;   in Loop: Header=BB11_587 Depth=1
	s_or_b32 exec_lo, exec_lo, s6
	v_lshrrev_b32_e32 v11, 16, v11
	s_delay_alu instid0(VALU_DEP_1) | instskip(SKIP_4) | instid1(VALU_DEP_2)
	v_and_or_b32 v11, 0xffff0000, v19, v11
	global_atomic_cmpswap_b32 v11, v[9:10], v[11:12], off offset:64 glc
	s_waitcnt vmcnt(0)
	v_cmp_eq_u32_e64 s0, v11, v12
	v_mov_b32_e32 v12, v11
	s_or_b32 s1, s0, s1
	s_delay_alu instid0(SALU_CYCLE_1)
	s_and_not1_b32 exec_lo, exec_lo, s1
	s_cbranch_execz .LBB11_595
.LBB11_587:                             ; =>This Inner Loop Header: Depth=1
	s_waitcnt vmcnt(0)
	v_lshlrev_b32_e32 v11, 16, v12
	s_delay_alu instid0(VALU_DEP_1) | instskip(NEXT) | instid1(VALU_DEP_1)
	v_add_f32_e32 v18, v13, v11
	v_and_b32_e32 v11, 0x7f800000, v18
	s_delay_alu instid0(VALU_DEP_1) | instskip(NEXT) | instid1(VALU_DEP_1)
	v_cmp_ne_u32_e64 s0, 0x7f800000, v11
                                        ; implicit-def: $vgpr11
	s_and_saveexec_b32 s6, s0
	s_delay_alu instid0(SALU_CYCLE_1)
	s_xor_b32 s0, exec_lo, s6
; %bb.588:                              ;   in Loop: Header=BB11_587 Depth=1
	v_bfe_u32 v11, v18, 16, 1
	s_delay_alu instid0(VALU_DEP_1)
	v_add3_u32 v11, v18, v11, 0x7fff
                                        ; implicit-def: $vgpr18
; %bb.589:                              ;   in Loop: Header=BB11_587 Depth=1
	s_and_not1_saveexec_b32 s6, s0
; %bb.590:                              ;   in Loop: Header=BB11_587 Depth=1
	v_and_b32_e32 v11, 0xffff, v18
	v_or_b32_e32 v19, 0x10000, v18
	s_delay_alu instid0(VALU_DEP_2) | instskip(NEXT) | instid1(VALU_DEP_1)
	v_cmp_eq_u32_e64 s0, 0, v11
	v_cndmask_b32_e64 v11, v19, v18, s0
; %bb.591:                              ;   in Loop: Header=BB11_587 Depth=1
	s_or_b32 exec_lo, exec_lo, s6
	v_and_b32_e32 v18, 0xffff0000, v12
	s_delay_alu instid0(VALU_DEP_1) | instskip(NEXT) | instid1(VALU_DEP_1)
	v_add_f32_e32 v18, v17, v18
	v_and_b32_e32 v19, 0x7f800000, v18
	s_delay_alu instid0(VALU_DEP_1) | instskip(NEXT) | instid1(VALU_DEP_1)
	v_cmp_ne_u32_e64 s0, 0x7f800000, v19
                                        ; implicit-def: $vgpr19
	s_and_saveexec_b32 s6, s0
	s_delay_alu instid0(SALU_CYCLE_1)
	s_xor_b32 s0, exec_lo, s6
; %bb.592:                              ;   in Loop: Header=BB11_587 Depth=1
	v_bfe_u32 v19, v18, 16, 1
	s_delay_alu instid0(VALU_DEP_1)
	v_add3_u32 v19, v18, v19, 0x7fff
                                        ; implicit-def: $vgpr18
; %bb.593:                              ;   in Loop: Header=BB11_587 Depth=1
	s_and_not1_saveexec_b32 s6, s0
	s_cbranch_execz .LBB11_586
; %bb.594:                              ;   in Loop: Header=BB11_587 Depth=1
	v_and_b32_e32 v19, 0xffff, v18
	v_or_b32_e32 v20, 0x10000, v18
	s_delay_alu instid0(VALU_DEP_2) | instskip(NEXT) | instid1(VALU_DEP_1)
	v_cmp_eq_u32_e64 s0, 0, v19
	v_cndmask_b32_e64 v19, v20, v18, s0
	s_branch .LBB11_586
.LBB11_595:
	s_or_b32 exec_lo, exec_lo, s5
	s_waitcnt lgkmcnt(0)
	ds_bpermute_b32 v10, v22, v14
	s_and_saveexec_b32 s5, vcc_lo
	s_cbranch_execz .LBB11_615
; %bb.596:
	v_or3_b32 v9, v54, v55, 10
	v_cmp_gt_i32_e64 s1, s17, v21
	s_delay_alu instid0(VALU_DEP_2) | instskip(NEXT) | instid1(VALU_DEP_1)
	v_cmp_gt_i32_e64 s0, s16, v9
	s_and_b32 s0, s0, s1
	s_delay_alu instid0(SALU_CYCLE_1)
	s_and_b32 exec_lo, exec_lo, s0
	s_cbranch_execz .LBB11_615
; %bb.597:
	v_and_b32_e32 v11, 0x7f800000, v14
	s_delay_alu instid0(VALU_DEP_1) | instskip(NEXT) | instid1(VALU_DEP_1)
	v_cmp_ne_u32_e64 s0, 0x7f800000, v11
                                        ; implicit-def: $vgpr11
	s_and_saveexec_b32 s1, s0
	s_delay_alu instid0(SALU_CYCLE_1)
	s_xor_b32 s0, exec_lo, s1
; %bb.598:
	v_bfe_u32 v11, v14, 16, 1
	s_delay_alu instid0(VALU_DEP_1)
	v_add3_u32 v11, v14, v11, 0x7fff
; %bb.599:
	s_and_not1_saveexec_b32 s1, s0
; %bb.600:
	v_and_b32_e32 v11, 0xffff, v14
	v_or_b32_e32 v12, 0x10000, v14
	s_delay_alu instid0(VALU_DEP_2) | instskip(NEXT) | instid1(VALU_DEP_1)
	v_cmp_eq_u32_e64 s0, 0, v11
	v_cndmask_b32_e64 v11, v12, v14, s0
; %bb.601:
	s_or_b32 exec_lo, exec_lo, s1
	s_waitcnt lgkmcnt(0)
	v_and_b32_e32 v12, 0x7f800000, v10
                                        ; implicit-def: $vgpr14
	s_delay_alu instid0(VALU_DEP_1) | instskip(NEXT) | instid1(VALU_DEP_1)
	v_cmp_ne_u32_e64 s0, 0x7f800000, v12
	s_and_saveexec_b32 s1, s0
	s_delay_alu instid0(SALU_CYCLE_1)
	s_xor_b32 s0, exec_lo, s1
; %bb.602:
	v_bfe_u32 v12, v10, 16, 1
	s_delay_alu instid0(VALU_DEP_1)
	v_add3_u32 v14, v10, v12, 0x7fff
                                        ; implicit-def: $vgpr10
; %bb.603:
	s_and_not1_saveexec_b32 s1, s0
; %bb.604:
	v_and_b32_e32 v12, 0xffff, v10
	v_or_b32_e32 v13, 0x10000, v10
	s_delay_alu instid0(VALU_DEP_2) | instskip(NEXT) | instid1(VALU_DEP_1)
	v_cmp_eq_u32_e64 s0, 0, v12
	v_cndmask_b32_e64 v14, v13, v10, s0
; %bb.605:
	s_or_b32 exec_lo, exec_lo, s1
	v_mul_lo_u32 v9, v9, s17
	s_ashr_i32 s0, s14, 31
	v_add_co_u32 v12, s1, s14, v53
	s_delay_alu instid0(VALU_DEP_1) | instskip(SKIP_2) | instid1(VALU_DEP_4)
	v_add_co_ci_u32_e64 v13, null, s0, 0, s1
	v_and_b32_e32 v14, 0xffff0000, v14
	s_mov_b32 s1, 0
	v_ashrrev_i32_e32 v10, 31, v9
	s_delay_alu instid0(VALU_DEP_3) | instskip(NEXT) | instid1(VALU_DEP_2)
	v_lshlrev_b64 v[12:13], 1, v[12:13]
	v_lshlrev_b64 v[9:10], 1, v[9:10]
	s_delay_alu instid0(VALU_DEP_1) | instskip(NEXT) | instid1(VALU_DEP_1)
	v_add_co_u32 v9, s0, s2, v9
	v_add_co_ci_u32_e64 v10, s0, s3, v10, s0
	s_delay_alu instid0(VALU_DEP_2) | instskip(NEXT) | instid1(VALU_DEP_1)
	v_add_co_u32 v9, s0, v9, v12
	v_add_co_ci_u32_e64 v10, s0, v10, v13, s0
	v_and_b32_e32 v13, 0xffff0000, v11
	global_load_b32 v12, v[9:10], off offset:64
	s_branch .LBB11_607
.LBB11_606:                             ;   in Loop: Header=BB11_607 Depth=1
	s_or_b32 exec_lo, exec_lo, s6
	v_lshrrev_b32_e32 v11, 16, v11
	s_delay_alu instid0(VALU_DEP_1) | instskip(SKIP_4) | instid1(VALU_DEP_2)
	v_and_or_b32 v11, 0xffff0000, v18, v11
	global_atomic_cmpswap_b32 v11, v[9:10], v[11:12], off offset:64 glc
	s_waitcnt vmcnt(0)
	v_cmp_eq_u32_e64 s0, v11, v12
	v_mov_b32_e32 v12, v11
	s_or_b32 s1, s0, s1
	s_delay_alu instid0(SALU_CYCLE_1)
	s_and_not1_b32 exec_lo, exec_lo, s1
	s_cbranch_execz .LBB11_615
.LBB11_607:                             ; =>This Inner Loop Header: Depth=1
	s_waitcnt vmcnt(0)
	v_lshlrev_b32_e32 v11, 16, v12
	s_delay_alu instid0(VALU_DEP_1) | instskip(NEXT) | instid1(VALU_DEP_1)
	v_add_f32_e32 v17, v13, v11
	v_and_b32_e32 v11, 0x7f800000, v17
	s_delay_alu instid0(VALU_DEP_1) | instskip(NEXT) | instid1(VALU_DEP_1)
	v_cmp_ne_u32_e64 s0, 0x7f800000, v11
                                        ; implicit-def: $vgpr11
	s_and_saveexec_b32 s6, s0
	s_delay_alu instid0(SALU_CYCLE_1)
	s_xor_b32 s0, exec_lo, s6
; %bb.608:                              ;   in Loop: Header=BB11_607 Depth=1
	v_bfe_u32 v11, v17, 16, 1
	s_delay_alu instid0(VALU_DEP_1)
	v_add3_u32 v11, v17, v11, 0x7fff
                                        ; implicit-def: $vgpr17
; %bb.609:                              ;   in Loop: Header=BB11_607 Depth=1
	s_and_not1_saveexec_b32 s6, s0
; %bb.610:                              ;   in Loop: Header=BB11_607 Depth=1
	v_and_b32_e32 v11, 0xffff, v17
	v_or_b32_e32 v18, 0x10000, v17
	s_delay_alu instid0(VALU_DEP_2) | instskip(NEXT) | instid1(VALU_DEP_1)
	v_cmp_eq_u32_e64 s0, 0, v11
	v_cndmask_b32_e64 v11, v18, v17, s0
; %bb.611:                              ;   in Loop: Header=BB11_607 Depth=1
	s_or_b32 exec_lo, exec_lo, s6
	v_and_b32_e32 v17, 0xffff0000, v12
	s_delay_alu instid0(VALU_DEP_1) | instskip(NEXT) | instid1(VALU_DEP_1)
	v_add_f32_e32 v17, v14, v17
	v_and_b32_e32 v18, 0x7f800000, v17
	s_delay_alu instid0(VALU_DEP_1) | instskip(NEXT) | instid1(VALU_DEP_1)
	v_cmp_ne_u32_e64 s0, 0x7f800000, v18
                                        ; implicit-def: $vgpr18
	s_and_saveexec_b32 s6, s0
	s_delay_alu instid0(SALU_CYCLE_1)
	s_xor_b32 s0, exec_lo, s6
; %bb.612:                              ;   in Loop: Header=BB11_607 Depth=1
	v_bfe_u32 v18, v17, 16, 1
	s_delay_alu instid0(VALU_DEP_1)
	v_add3_u32 v18, v17, v18, 0x7fff
                                        ; implicit-def: $vgpr17
; %bb.613:                              ;   in Loop: Header=BB11_607 Depth=1
	s_and_not1_saveexec_b32 s6, s0
	s_cbranch_execz .LBB11_606
; %bb.614:                              ;   in Loop: Header=BB11_607 Depth=1
	v_and_b32_e32 v18, 0xffff, v17
	v_or_b32_e32 v19, 0x10000, v17
	s_delay_alu instid0(VALU_DEP_2) | instskip(NEXT) | instid1(VALU_DEP_1)
	v_cmp_eq_u32_e64 s0, 0, v18
	v_cndmask_b32_e64 v18, v19, v17, s0
	s_branch .LBB11_606
.LBB11_615:
	s_or_b32 exec_lo, exec_lo, s5
	s_waitcnt lgkmcnt(0)
	ds_bpermute_b32 v10, v22, v15
	s_and_saveexec_b32 s5, vcc_lo
	s_cbranch_execz .LBB11_635
; %bb.616:
	v_or3_b32 v9, v54, v55, 12
	v_cmp_gt_i32_e64 s1, s17, v21
	s_delay_alu instid0(VALU_DEP_2) | instskip(NEXT) | instid1(VALU_DEP_1)
	v_cmp_gt_i32_e64 s0, s16, v9
	s_and_b32 s0, s0, s1
	s_delay_alu instid0(SALU_CYCLE_1)
	s_and_b32 exec_lo, exec_lo, s0
	s_cbranch_execz .LBB11_635
; %bb.617:
	v_and_b32_e32 v11, 0x7f800000, v15
	s_delay_alu instid0(VALU_DEP_1) | instskip(NEXT) | instid1(VALU_DEP_1)
	v_cmp_ne_u32_e64 s0, 0x7f800000, v11
                                        ; implicit-def: $vgpr11
	s_and_saveexec_b32 s1, s0
	s_delay_alu instid0(SALU_CYCLE_1)
	s_xor_b32 s0, exec_lo, s1
; %bb.618:
	v_bfe_u32 v11, v15, 16, 1
	s_delay_alu instid0(VALU_DEP_1)
	v_add3_u32 v11, v15, v11, 0x7fff
; %bb.619:
	s_and_not1_saveexec_b32 s1, s0
; %bb.620:
	v_and_b32_e32 v11, 0xffff, v15
	v_or_b32_e32 v12, 0x10000, v15
	s_delay_alu instid0(VALU_DEP_2) | instskip(NEXT) | instid1(VALU_DEP_1)
	v_cmp_eq_u32_e64 s0, 0, v11
	v_cndmask_b32_e64 v11, v12, v15, s0
; %bb.621:
	s_or_b32 exec_lo, exec_lo, s1
	s_waitcnt lgkmcnt(0)
	v_and_b32_e32 v12, 0x7f800000, v10
                                        ; implicit-def: $vgpr14
	s_delay_alu instid0(VALU_DEP_1) | instskip(NEXT) | instid1(VALU_DEP_1)
	v_cmp_ne_u32_e64 s0, 0x7f800000, v12
	s_and_saveexec_b32 s1, s0
	s_delay_alu instid0(SALU_CYCLE_1)
	s_xor_b32 s0, exec_lo, s1
; %bb.622:
	v_bfe_u32 v12, v10, 16, 1
	s_delay_alu instid0(VALU_DEP_1)
	v_add3_u32 v14, v10, v12, 0x7fff
                                        ; implicit-def: $vgpr10
; %bb.623:
	s_and_not1_saveexec_b32 s1, s0
; %bb.624:
	v_and_b32_e32 v12, 0xffff, v10
	v_or_b32_e32 v13, 0x10000, v10
	s_delay_alu instid0(VALU_DEP_2) | instskip(NEXT) | instid1(VALU_DEP_1)
	v_cmp_eq_u32_e64 s0, 0, v12
	v_cndmask_b32_e64 v14, v13, v10, s0
; %bb.625:
	s_or_b32 exec_lo, exec_lo, s1
	v_mul_lo_u32 v9, v9, s17
	s_ashr_i32 s0, s14, 31
	v_add_co_u32 v12, s1, s14, v53
	s_delay_alu instid0(VALU_DEP_1) | instskip(SKIP_2) | instid1(VALU_DEP_4)
	v_add_co_ci_u32_e64 v13, null, s0, 0, s1
	v_and_b32_e32 v14, 0xffff0000, v14
	s_mov_b32 s1, 0
	v_ashrrev_i32_e32 v10, 31, v9
	s_delay_alu instid0(VALU_DEP_3) | instskip(NEXT) | instid1(VALU_DEP_2)
	v_lshlrev_b64 v[12:13], 1, v[12:13]
	v_lshlrev_b64 v[9:10], 1, v[9:10]
	s_delay_alu instid0(VALU_DEP_1) | instskip(NEXT) | instid1(VALU_DEP_1)
	v_add_co_u32 v9, s0, s2, v9
	v_add_co_ci_u32_e64 v10, s0, s3, v10, s0
	s_delay_alu instid0(VALU_DEP_2) | instskip(NEXT) | instid1(VALU_DEP_1)
	v_add_co_u32 v9, s0, v9, v12
	v_add_co_ci_u32_e64 v10, s0, v10, v13, s0
	v_and_b32_e32 v13, 0xffff0000, v11
	global_load_b32 v12, v[9:10], off offset:64
	s_branch .LBB11_627
.LBB11_626:                             ;   in Loop: Header=BB11_627 Depth=1
	s_or_b32 exec_lo, exec_lo, s6
	v_lshrrev_b32_e32 v11, 16, v11
	s_delay_alu instid0(VALU_DEP_1) | instskip(SKIP_4) | instid1(VALU_DEP_2)
	v_and_or_b32 v11, 0xffff0000, v17, v11
	global_atomic_cmpswap_b32 v11, v[9:10], v[11:12], off offset:64 glc
	s_waitcnt vmcnt(0)
	v_cmp_eq_u32_e64 s0, v11, v12
	v_mov_b32_e32 v12, v11
	s_or_b32 s1, s0, s1
	s_delay_alu instid0(SALU_CYCLE_1)
	s_and_not1_b32 exec_lo, exec_lo, s1
	s_cbranch_execz .LBB11_635
.LBB11_627:                             ; =>This Inner Loop Header: Depth=1
	s_waitcnt vmcnt(0)
	v_lshlrev_b32_e32 v11, 16, v12
	s_delay_alu instid0(VALU_DEP_1) | instskip(NEXT) | instid1(VALU_DEP_1)
	v_add_f32_e32 v15, v13, v11
	v_and_b32_e32 v11, 0x7f800000, v15
	s_delay_alu instid0(VALU_DEP_1) | instskip(NEXT) | instid1(VALU_DEP_1)
	v_cmp_ne_u32_e64 s0, 0x7f800000, v11
                                        ; implicit-def: $vgpr11
	s_and_saveexec_b32 s6, s0
	s_delay_alu instid0(SALU_CYCLE_1)
	s_xor_b32 s0, exec_lo, s6
; %bb.628:                              ;   in Loop: Header=BB11_627 Depth=1
	v_bfe_u32 v11, v15, 16, 1
	s_delay_alu instid0(VALU_DEP_1)
	v_add3_u32 v11, v15, v11, 0x7fff
                                        ; implicit-def: $vgpr15
; %bb.629:                              ;   in Loop: Header=BB11_627 Depth=1
	s_and_not1_saveexec_b32 s6, s0
; %bb.630:                              ;   in Loop: Header=BB11_627 Depth=1
	v_and_b32_e32 v11, 0xffff, v15
	v_or_b32_e32 v17, 0x10000, v15
	s_delay_alu instid0(VALU_DEP_2) | instskip(NEXT) | instid1(VALU_DEP_1)
	v_cmp_eq_u32_e64 s0, 0, v11
	v_cndmask_b32_e64 v11, v17, v15, s0
; %bb.631:                              ;   in Loop: Header=BB11_627 Depth=1
	s_or_b32 exec_lo, exec_lo, s6
	v_and_b32_e32 v15, 0xffff0000, v12
	s_delay_alu instid0(VALU_DEP_1) | instskip(NEXT) | instid1(VALU_DEP_1)
	v_add_f32_e32 v15, v14, v15
	v_and_b32_e32 v17, 0x7f800000, v15
	s_delay_alu instid0(VALU_DEP_1) | instskip(NEXT) | instid1(VALU_DEP_1)
	v_cmp_ne_u32_e64 s0, 0x7f800000, v17
                                        ; implicit-def: $vgpr17
	s_and_saveexec_b32 s6, s0
	s_delay_alu instid0(SALU_CYCLE_1)
	s_xor_b32 s0, exec_lo, s6
; %bb.632:                              ;   in Loop: Header=BB11_627 Depth=1
	v_bfe_u32 v17, v15, 16, 1
	s_delay_alu instid0(VALU_DEP_1)
	v_add3_u32 v17, v15, v17, 0x7fff
                                        ; implicit-def: $vgpr15
; %bb.633:                              ;   in Loop: Header=BB11_627 Depth=1
	s_and_not1_saveexec_b32 s6, s0
	s_cbranch_execz .LBB11_626
; %bb.634:                              ;   in Loop: Header=BB11_627 Depth=1
	v_and_b32_e32 v17, 0xffff, v15
	v_or_b32_e32 v18, 0x10000, v15
	s_delay_alu instid0(VALU_DEP_2) | instskip(NEXT) | instid1(VALU_DEP_1)
	v_cmp_eq_u32_e64 s0, 0, v17
	v_cndmask_b32_e64 v17, v18, v15, s0
	s_branch .LBB11_626
.LBB11_635:
	s_or_b32 exec_lo, exec_lo, s5
	ds_bpermute_b32 v19, v22, v16
	s_and_saveexec_b32 s1, vcc_lo
	s_cbranch_execz .LBB11_655
; %bb.636:
	v_or3_b32 v18, v54, v55, 14
	v_cmp_gt_i32_e64 s0, s17, v21
	s_delay_alu instid0(VALU_DEP_2) | instskip(NEXT) | instid1(VALU_DEP_2)
	v_cmp_gt_i32_e32 vcc_lo, s16, v18
	s_and_b32 s0, vcc_lo, s0
	s_delay_alu instid0(SALU_CYCLE_1)
	s_and_b32 exec_lo, exec_lo, s0
	s_cbranch_execz .LBB11_655
; %bb.637:
	v_and_b32_e32 v9, 0x7f800000, v16
	s_mov_b32 s0, exec_lo
                                        ; implicit-def: $vgpr17
	s_delay_alu instid0(VALU_DEP_1)
	v_cmpx_ne_u32_e32 0x7f800000, v9
	s_xor_b32 s0, exec_lo, s0
; %bb.638:
	v_bfe_u32 v9, v16, 16, 1
	s_delay_alu instid0(VALU_DEP_1)
	v_add3_u32 v17, v16, v9, 0x7fff
                                        ; implicit-def: $vgpr9_vgpr10_vgpr11_vgpr12_vgpr13_vgpr14_vgpr15_vgpr16
; %bb.639:
	s_and_not1_saveexec_b32 s0, s0
	s_cbranch_execz .LBB11_641
; %bb.640:
	v_and_b32_e32 v9, 0xffff, v16
	s_waitcnt lgkmcnt(1)
	v_or_b32_e32 v10, 0x10000, v16
	s_delay_alu instid0(VALU_DEP_2) | instskip(NEXT) | instid1(VALU_DEP_2)
	v_cmp_eq_u32_e32 vcc_lo, 0, v9
	v_cndmask_b32_e32 v17, v10, v16, vcc_lo
.LBB11_641:
	s_or_b32 exec_lo, exec_lo, s0
	s_waitcnt lgkmcnt(0)
	v_and_b32_e32 v9, 0x7f800000, v19
	s_mov_b32 s0, exec_lo
                                        ; implicit-def: $vgpr11
	s_delay_alu instid0(VALU_DEP_1)
	v_cmpx_ne_u32_e32 0x7f800000, v9
	s_xor_b32 s0, exec_lo, s0
; %bb.642:
	v_bfe_u32 v9, v19, 16, 1
	s_delay_alu instid0(VALU_DEP_1)
	v_add3_u32 v11, v19, v9, 0x7fff
                                        ; implicit-def: $vgpr19
; %bb.643:
	s_and_not1_saveexec_b32 s0, s0
; %bb.644:
	v_and_b32_e32 v9, 0xffff, v19
	v_or_b32_e32 v10, 0x10000, v19
	s_delay_alu instid0(VALU_DEP_2) | instskip(NEXT) | instid1(VALU_DEP_2)
	v_cmp_eq_u32_e32 vcc_lo, 0, v9
	v_cndmask_b32_e32 v11, v10, v19, vcc_lo
; %bb.645:
	s_or_b32 exec_lo, exec_lo, s0
	v_mul_lo_u32 v9, v18, s17
	s_ashr_i32 s0, s14, 31
	v_add_co_u32 v12, s5, s14, v53
	s_delay_alu instid0(VALU_DEP_1) | instskip(SKIP_2) | instid1(VALU_DEP_4)
	v_add_co_ci_u32_e64 v13, null, s0, 0, s5
	v_and_b32_e32 v14, 0xffff0000, v11
	s_mov_b32 s0, 0
	v_ashrrev_i32_e32 v10, 31, v9
	s_delay_alu instid0(VALU_DEP_3) | instskip(NEXT) | instid1(VALU_DEP_2)
	v_lshlrev_b64 v[12:13], 1, v[12:13]
	v_lshlrev_b64 v[9:10], 1, v[9:10]
	s_delay_alu instid0(VALU_DEP_1) | instskip(NEXT) | instid1(VALU_DEP_2)
	v_add_co_u32 v9, vcc_lo, s2, v9
	v_add_co_ci_u32_e32 v10, vcc_lo, s3, v10, vcc_lo
	s_delay_alu instid0(VALU_DEP_2) | instskip(NEXT) | instid1(VALU_DEP_2)
	v_add_co_u32 v9, vcc_lo, v9, v12
	v_add_co_ci_u32_e32 v10, vcc_lo, v10, v13, vcc_lo
	v_and_b32_e32 v13, 0xffff0000, v17
	global_load_b32 v12, v[9:10], off offset:64
	s_branch .LBB11_647
.LBB11_646:                             ;   in Loop: Header=BB11_647 Depth=1
	s_or_b32 exec_lo, exec_lo, s5
	v_lshrrev_b32_e32 v11, 16, v11
	s_delay_alu instid0(VALU_DEP_1)
	v_and_or_b32 v11, 0xffff0000, v16, v11
	global_atomic_cmpswap_b32 v11, v[9:10], v[11:12], off offset:64 glc
	s_waitcnt vmcnt(0)
	v_cmp_eq_u32_e32 vcc_lo, v11, v12
	v_mov_b32_e32 v12, v11
	s_or_b32 s0, vcc_lo, s0
	s_delay_alu instid0(SALU_CYCLE_1)
	s_and_not1_b32 exec_lo, exec_lo, s0
	s_cbranch_execz .LBB11_655
.LBB11_647:                             ; =>This Inner Loop Header: Depth=1
	s_waitcnt vmcnt(0)
	v_lshlrev_b32_e32 v11, 16, v12
	s_delay_alu instid0(VALU_DEP_1) | instskip(NEXT) | instid1(VALU_DEP_1)
	v_add_f32_e32 v15, v13, v11
	v_and_b32_e32 v11, 0x7f800000, v15
	s_delay_alu instid0(VALU_DEP_1) | instskip(SKIP_1) | instid1(SALU_CYCLE_1)
	v_cmp_ne_u32_e32 vcc_lo, 0x7f800000, v11
                                        ; implicit-def: $vgpr11
	s_and_saveexec_b32 s5, vcc_lo
	s_xor_b32 s5, exec_lo, s5
; %bb.648:                              ;   in Loop: Header=BB11_647 Depth=1
	v_bfe_u32 v11, v15, 16, 1
	s_delay_alu instid0(VALU_DEP_1)
	v_add3_u32 v11, v15, v11, 0x7fff
                                        ; implicit-def: $vgpr15
; %bb.649:                              ;   in Loop: Header=BB11_647 Depth=1
	s_and_not1_saveexec_b32 s5, s5
; %bb.650:                              ;   in Loop: Header=BB11_647 Depth=1
	v_and_b32_e32 v11, 0xffff, v15
	v_or_b32_e32 v16, 0x10000, v15
	s_delay_alu instid0(VALU_DEP_2) | instskip(NEXT) | instid1(VALU_DEP_2)
	v_cmp_eq_u32_e32 vcc_lo, 0, v11
	v_cndmask_b32_e32 v11, v16, v15, vcc_lo
; %bb.651:                              ;   in Loop: Header=BB11_647 Depth=1
	s_or_b32 exec_lo, exec_lo, s5
	v_and_b32_e32 v15, 0xffff0000, v12
	s_delay_alu instid0(VALU_DEP_1) | instskip(NEXT) | instid1(VALU_DEP_1)
	v_add_f32_e32 v15, v14, v15
	v_and_b32_e32 v16, 0x7f800000, v15
	s_delay_alu instid0(VALU_DEP_1) | instskip(SKIP_1) | instid1(SALU_CYCLE_1)
	v_cmp_ne_u32_e32 vcc_lo, 0x7f800000, v16
                                        ; implicit-def: $vgpr16
	s_and_saveexec_b32 s5, vcc_lo
	s_xor_b32 s5, exec_lo, s5
; %bb.652:                              ;   in Loop: Header=BB11_647 Depth=1
	v_bfe_u32 v16, v15, 16, 1
	s_delay_alu instid0(VALU_DEP_1)
	v_add3_u32 v16, v15, v16, 0x7fff
                                        ; implicit-def: $vgpr15
; %bb.653:                              ;   in Loop: Header=BB11_647 Depth=1
	s_and_not1_saveexec_b32 s5, s5
	s_cbranch_execz .LBB11_646
; %bb.654:                              ;   in Loop: Header=BB11_647 Depth=1
	v_and_b32_e32 v16, 0xffff, v15
	v_or_b32_e32 v17, 0x10000, v15
	s_delay_alu instid0(VALU_DEP_2) | instskip(NEXT) | instid1(VALU_DEP_2)
	v_cmp_eq_u32_e32 vcc_lo, 0, v16
	v_cndmask_b32_e32 v16, v17, v15, vcc_lo
	s_branch .LBB11_646
.LBB11_655:
	s_or_b32 exec_lo, exec_lo, s1
	s_or_b32 s0, s14, 48
	s_and_b32 vcc_lo, exec_lo, s4
	s_mov_b32 s1, -1
	s_cbranch_vccz .LBB11_22
.LBB11_656:
	v_or_b32_e32 v9, s0, v53
	s_mov_b32 s1, exec_lo
	s_delay_alu instid0(VALU_DEP_1)
	v_cmpx_gt_i32_e64 s17, v9
	s_cbranch_execz .LBB11_705
; %bb.657:
	v_or_b32_e32 v9, v55, v54
	s_mov_b32 s4, exec_lo
	s_delay_alu instid0(VALU_DEP_1)
	v_cmpx_gt_i32_e64 s16, v9
	s_cbranch_execz .LBB11_663
; %bb.658:
	s_waitcnt lgkmcnt(1)
	v_and_b32_e32 v10, 0x7f800000, v1
	s_delay_alu instid0(VALU_DEP_1) | instskip(SKIP_1) | instid1(SALU_CYCLE_1)
	v_cmp_ne_u32_e32 vcc_lo, 0x7f800000, v10
                                        ; implicit-def: $vgpr10
	s_and_saveexec_b32 s5, vcc_lo
	s_xor_b32 s5, exec_lo, s5
; %bb.659:
	v_bfe_u32 v10, v1, 16, 1
	s_delay_alu instid0(VALU_DEP_1)
	v_add3_u32 v10, v1, v10, 0x7fff
; %bb.660:
	s_and_not1_saveexec_b32 s5, s5
; %bb.661:
	v_and_b32_e32 v10, 0xffff, v1
	v_or_b32_e32 v11, 0x10000, v1
	s_delay_alu instid0(VALU_DEP_2) | instskip(NEXT) | instid1(VALU_DEP_2)
	v_cmp_eq_u32_e32 vcc_lo, 0, v10
	v_cndmask_b32_e32 v10, v11, v1, vcc_lo
; %bb.662:
	s_or_b32 exec_lo, exec_lo, s5
	v_mul_lo_u32 v11, v9, s17
	s_ashr_i32 s5, s14, 31
	v_add_co_u32 v13, s6, s14, v53
	s_delay_alu instid0(VALU_DEP_1) | instskip(NEXT) | instid1(VALU_DEP_3)
	v_add_co_ci_u32_e64 v14, null, s5, 0, s6
	v_ashrrev_i32_e32 v12, 31, v11
	s_delay_alu instid0(VALU_DEP_2) | instskip(NEXT) | instid1(VALU_DEP_2)
	v_lshlrev_b64 v[13:14], 1, v[13:14]
	v_lshlrev_b64 v[11:12], 1, v[11:12]
	s_delay_alu instid0(VALU_DEP_1) | instskip(NEXT) | instid1(VALU_DEP_2)
	v_add_co_u32 v11, vcc_lo, s2, v11
	v_add_co_ci_u32_e32 v12, vcc_lo, s3, v12, vcc_lo
	s_delay_alu instid0(VALU_DEP_2) | instskip(NEXT) | instid1(VALU_DEP_2)
	v_add_co_u32 v11, vcc_lo, v11, v13
	v_add_co_ci_u32_e32 v12, vcc_lo, v12, v14, vcc_lo
	global_store_d16_hi_b16 v[11:12], v10, off offset:96
.LBB11_663:
	s_or_b32 exec_lo, exec_lo, s4
	v_or_b32_e32 v11, 2, v9
	s_mov_b32 s4, exec_lo
	s_delay_alu instid0(VALU_DEP_1)
	v_cmpx_gt_i32_e64 s16, v11
	s_cbranch_execz .LBB11_669
; %bb.664:
	s_waitcnt lgkmcnt(1)
	v_and_b32_e32 v10, 0x7f800000, v2
	s_delay_alu instid0(VALU_DEP_1) | instskip(SKIP_1) | instid1(SALU_CYCLE_1)
	v_cmp_ne_u32_e32 vcc_lo, 0x7f800000, v10
                                        ; implicit-def: $vgpr10
	s_and_saveexec_b32 s5, vcc_lo
	s_xor_b32 s5, exec_lo, s5
; %bb.665:
	v_bfe_u32 v10, v2, 16, 1
	s_delay_alu instid0(VALU_DEP_1)
	v_add3_u32 v10, v2, v10, 0x7fff
; %bb.666:
	s_and_not1_saveexec_b32 s5, s5
; %bb.667:
	v_and_b32_e32 v10, 0xffff, v2
	v_or_b32_e32 v12, 0x10000, v2
	s_delay_alu instid0(VALU_DEP_2) | instskip(NEXT) | instid1(VALU_DEP_2)
	v_cmp_eq_u32_e32 vcc_lo, 0, v10
	v_cndmask_b32_e32 v10, v12, v2, vcc_lo
; %bb.668:
	s_or_b32 exec_lo, exec_lo, s5
	v_mul_lo_u32 v11, v11, s17
	s_ashr_i32 s5, s14, 31
	v_add_co_u32 v13, s6, s14, v53
	s_delay_alu instid0(VALU_DEP_1) | instskip(NEXT) | instid1(VALU_DEP_3)
	v_add_co_ci_u32_e64 v14, null, s5, 0, s6
	v_ashrrev_i32_e32 v12, 31, v11
	s_delay_alu instid0(VALU_DEP_2) | instskip(NEXT) | instid1(VALU_DEP_2)
	v_lshlrev_b64 v[13:14], 1, v[13:14]
	v_lshlrev_b64 v[11:12], 1, v[11:12]
	s_delay_alu instid0(VALU_DEP_1) | instskip(NEXT) | instid1(VALU_DEP_2)
	v_add_co_u32 v11, vcc_lo, s2, v11
	v_add_co_ci_u32_e32 v12, vcc_lo, s3, v12, vcc_lo
	s_delay_alu instid0(VALU_DEP_2) | instskip(NEXT) | instid1(VALU_DEP_2)
	v_add_co_u32 v11, vcc_lo, v11, v13
	v_add_co_ci_u32_e32 v12, vcc_lo, v12, v14, vcc_lo
	global_store_d16_hi_b16 v[11:12], v10, off offset:96
.LBB11_669:
	s_or_b32 exec_lo, exec_lo, s4
	v_or_b32_e32 v11, 4, v9
	s_mov_b32 s4, exec_lo
	s_delay_alu instid0(VALU_DEP_1)
	v_cmpx_gt_i32_e64 s16, v11
	s_cbranch_execz .LBB11_675
; %bb.670:
	s_waitcnt lgkmcnt(1)
	v_and_b32_e32 v10, 0x7f800000, v3
	s_delay_alu instid0(VALU_DEP_1) | instskip(SKIP_1) | instid1(SALU_CYCLE_1)
	v_cmp_ne_u32_e32 vcc_lo, 0x7f800000, v10
                                        ; implicit-def: $vgpr10
	s_and_saveexec_b32 s5, vcc_lo
	s_xor_b32 s5, exec_lo, s5
; %bb.671:
	v_bfe_u32 v10, v3, 16, 1
	s_delay_alu instid0(VALU_DEP_1)
	v_add3_u32 v10, v3, v10, 0x7fff
; %bb.672:
	s_and_not1_saveexec_b32 s5, s5
; %bb.673:
	v_and_b32_e32 v10, 0xffff, v3
	v_or_b32_e32 v12, 0x10000, v3
	s_delay_alu instid0(VALU_DEP_2) | instskip(NEXT) | instid1(VALU_DEP_2)
	v_cmp_eq_u32_e32 vcc_lo, 0, v10
	v_cndmask_b32_e32 v10, v12, v3, vcc_lo
; %bb.674:
	s_or_b32 exec_lo, exec_lo, s5
	v_mul_lo_u32 v11, v11, s17
	s_ashr_i32 s5, s14, 31
	v_add_co_u32 v13, s6, s14, v53
	s_delay_alu instid0(VALU_DEP_1) | instskip(NEXT) | instid1(VALU_DEP_3)
	v_add_co_ci_u32_e64 v14, null, s5, 0, s6
	v_ashrrev_i32_e32 v12, 31, v11
	s_delay_alu instid0(VALU_DEP_2) | instskip(NEXT) | instid1(VALU_DEP_2)
	v_lshlrev_b64 v[13:14], 1, v[13:14]
	v_lshlrev_b64 v[11:12], 1, v[11:12]
	s_delay_alu instid0(VALU_DEP_1) | instskip(NEXT) | instid1(VALU_DEP_2)
	v_add_co_u32 v11, vcc_lo, s2, v11
	v_add_co_ci_u32_e32 v12, vcc_lo, s3, v12, vcc_lo
	s_delay_alu instid0(VALU_DEP_2) | instskip(NEXT) | instid1(VALU_DEP_2)
	v_add_co_u32 v11, vcc_lo, v11, v13
	v_add_co_ci_u32_e32 v12, vcc_lo, v12, v14, vcc_lo
	global_store_d16_hi_b16 v[11:12], v10, off offset:96
.LBB11_675:
	s_or_b32 exec_lo, exec_lo, s4
	v_or_b32_e32 v11, 6, v9
	s_mov_b32 s4, exec_lo
	s_delay_alu instid0(VALU_DEP_1)
	v_cmpx_gt_i32_e64 s16, v11
	s_cbranch_execz .LBB11_681
; %bb.676:
	s_waitcnt lgkmcnt(1)
	v_and_b32_e32 v10, 0x7f800000, v4
	s_delay_alu instid0(VALU_DEP_1) | instskip(SKIP_1) | instid1(SALU_CYCLE_1)
	v_cmp_ne_u32_e32 vcc_lo, 0x7f800000, v10
                                        ; implicit-def: $vgpr10
	s_and_saveexec_b32 s5, vcc_lo
	s_xor_b32 s5, exec_lo, s5
; %bb.677:
	v_bfe_u32 v10, v4, 16, 1
	s_delay_alu instid0(VALU_DEP_1)
	v_add3_u32 v10, v4, v10, 0x7fff
; %bb.678:
	s_and_not1_saveexec_b32 s5, s5
; %bb.679:
	v_and_b32_e32 v10, 0xffff, v4
	v_or_b32_e32 v12, 0x10000, v4
	s_delay_alu instid0(VALU_DEP_2) | instskip(NEXT) | instid1(VALU_DEP_2)
	v_cmp_eq_u32_e32 vcc_lo, 0, v10
	v_cndmask_b32_e32 v10, v12, v4, vcc_lo
; %bb.680:
	s_or_b32 exec_lo, exec_lo, s5
	v_mul_lo_u32 v11, v11, s17
	s_ashr_i32 s5, s14, 31
	v_add_co_u32 v13, s6, s14, v53
	s_delay_alu instid0(VALU_DEP_1) | instskip(NEXT) | instid1(VALU_DEP_3)
	v_add_co_ci_u32_e64 v14, null, s5, 0, s6
	v_ashrrev_i32_e32 v12, 31, v11
	s_delay_alu instid0(VALU_DEP_2) | instskip(NEXT) | instid1(VALU_DEP_2)
	v_lshlrev_b64 v[13:14], 1, v[13:14]
	v_lshlrev_b64 v[11:12], 1, v[11:12]
	s_delay_alu instid0(VALU_DEP_1) | instskip(NEXT) | instid1(VALU_DEP_2)
	v_add_co_u32 v11, vcc_lo, s2, v11
	v_add_co_ci_u32_e32 v12, vcc_lo, s3, v12, vcc_lo
	s_delay_alu instid0(VALU_DEP_2) | instskip(NEXT) | instid1(VALU_DEP_2)
	v_add_co_u32 v11, vcc_lo, v11, v13
	v_add_co_ci_u32_e32 v12, vcc_lo, v12, v14, vcc_lo
	global_store_d16_hi_b16 v[11:12], v10, off offset:96
.LBB11_681:
	s_or_b32 exec_lo, exec_lo, s4
	v_or_b32_e32 v11, 8, v9
	s_mov_b32 s4, exec_lo
	s_delay_alu instid0(VALU_DEP_1)
	v_cmpx_gt_i32_e64 s16, v11
	s_cbranch_execz .LBB11_687
; %bb.682:
	s_waitcnt lgkmcnt(1)
	v_and_b32_e32 v10, 0x7f800000, v5
	s_delay_alu instid0(VALU_DEP_1) | instskip(SKIP_1) | instid1(SALU_CYCLE_1)
	v_cmp_ne_u32_e32 vcc_lo, 0x7f800000, v10
                                        ; implicit-def: $vgpr10
	s_and_saveexec_b32 s5, vcc_lo
	s_xor_b32 s5, exec_lo, s5
; %bb.683:
	v_bfe_u32 v10, v5, 16, 1
	s_delay_alu instid0(VALU_DEP_1)
	v_add3_u32 v10, v5, v10, 0x7fff
; %bb.684:
	s_and_not1_saveexec_b32 s5, s5
; %bb.685:
	v_and_b32_e32 v10, 0xffff, v5
	v_or_b32_e32 v12, 0x10000, v5
	s_delay_alu instid0(VALU_DEP_2) | instskip(NEXT) | instid1(VALU_DEP_2)
	v_cmp_eq_u32_e32 vcc_lo, 0, v10
	v_cndmask_b32_e32 v10, v12, v5, vcc_lo
; %bb.686:
	s_or_b32 exec_lo, exec_lo, s5
	v_mul_lo_u32 v11, v11, s17
	s_ashr_i32 s5, s14, 31
	v_add_co_u32 v13, s6, s14, v53
	s_delay_alu instid0(VALU_DEP_1) | instskip(NEXT) | instid1(VALU_DEP_3)
	v_add_co_ci_u32_e64 v14, null, s5, 0, s6
	v_ashrrev_i32_e32 v12, 31, v11
	s_delay_alu instid0(VALU_DEP_2) | instskip(NEXT) | instid1(VALU_DEP_2)
	v_lshlrev_b64 v[13:14], 1, v[13:14]
	v_lshlrev_b64 v[11:12], 1, v[11:12]
	s_delay_alu instid0(VALU_DEP_1) | instskip(NEXT) | instid1(VALU_DEP_2)
	v_add_co_u32 v11, vcc_lo, s2, v11
	v_add_co_ci_u32_e32 v12, vcc_lo, s3, v12, vcc_lo
	s_delay_alu instid0(VALU_DEP_2) | instskip(NEXT) | instid1(VALU_DEP_2)
	v_add_co_u32 v11, vcc_lo, v11, v13
	v_add_co_ci_u32_e32 v12, vcc_lo, v12, v14, vcc_lo
	global_store_d16_hi_b16 v[11:12], v10, off offset:96
.LBB11_687:
	s_or_b32 exec_lo, exec_lo, s4
	v_or_b32_e32 v11, 10, v9
	s_mov_b32 s4, exec_lo
	s_delay_alu instid0(VALU_DEP_1)
	v_cmpx_gt_i32_e64 s16, v11
	s_cbranch_execz .LBB11_693
; %bb.688:
	s_waitcnt lgkmcnt(1)
	v_and_b32_e32 v10, 0x7f800000, v6
	s_delay_alu instid0(VALU_DEP_1) | instskip(SKIP_1) | instid1(SALU_CYCLE_1)
	v_cmp_ne_u32_e32 vcc_lo, 0x7f800000, v10
                                        ; implicit-def: $vgpr10
	s_and_saveexec_b32 s5, vcc_lo
	s_xor_b32 s5, exec_lo, s5
; %bb.689:
	v_bfe_u32 v10, v6, 16, 1
	s_delay_alu instid0(VALU_DEP_1)
	v_add3_u32 v10, v6, v10, 0x7fff
; %bb.690:
	s_and_not1_saveexec_b32 s5, s5
; %bb.691:
	v_and_b32_e32 v10, 0xffff, v6
	v_or_b32_e32 v12, 0x10000, v6
	s_delay_alu instid0(VALU_DEP_2) | instskip(NEXT) | instid1(VALU_DEP_2)
	v_cmp_eq_u32_e32 vcc_lo, 0, v10
	v_cndmask_b32_e32 v10, v12, v6, vcc_lo
; %bb.692:
	s_or_b32 exec_lo, exec_lo, s5
	v_mul_lo_u32 v11, v11, s17
	s_ashr_i32 s5, s14, 31
	v_add_co_u32 v13, s6, s14, v53
	s_delay_alu instid0(VALU_DEP_1) | instskip(NEXT) | instid1(VALU_DEP_3)
	v_add_co_ci_u32_e64 v14, null, s5, 0, s6
	v_ashrrev_i32_e32 v12, 31, v11
	s_delay_alu instid0(VALU_DEP_2) | instskip(NEXT) | instid1(VALU_DEP_2)
	v_lshlrev_b64 v[13:14], 1, v[13:14]
	v_lshlrev_b64 v[11:12], 1, v[11:12]
	s_delay_alu instid0(VALU_DEP_1) | instskip(NEXT) | instid1(VALU_DEP_2)
	v_add_co_u32 v11, vcc_lo, s2, v11
	v_add_co_ci_u32_e32 v12, vcc_lo, s3, v12, vcc_lo
	s_delay_alu instid0(VALU_DEP_2) | instskip(NEXT) | instid1(VALU_DEP_2)
	v_add_co_u32 v11, vcc_lo, v11, v13
	v_add_co_ci_u32_e32 v12, vcc_lo, v12, v14, vcc_lo
	global_store_d16_hi_b16 v[11:12], v10, off offset:96
.LBB11_693:
	s_or_b32 exec_lo, exec_lo, s4
	v_or_b32_e32 v11, 12, v9
	s_mov_b32 s4, exec_lo
	s_delay_alu instid0(VALU_DEP_1)
	v_cmpx_gt_i32_e64 s16, v11
	s_cbranch_execz .LBB11_699
; %bb.694:
	s_waitcnt lgkmcnt(1)
	v_and_b32_e32 v10, 0x7f800000, v7
	s_delay_alu instid0(VALU_DEP_1) | instskip(SKIP_1) | instid1(SALU_CYCLE_1)
	v_cmp_ne_u32_e32 vcc_lo, 0x7f800000, v10
                                        ; implicit-def: $vgpr10
	s_and_saveexec_b32 s5, vcc_lo
	s_xor_b32 s5, exec_lo, s5
; %bb.695:
	v_bfe_u32 v10, v7, 16, 1
	s_delay_alu instid0(VALU_DEP_1)
	v_add3_u32 v10, v7, v10, 0x7fff
; %bb.696:
	s_and_not1_saveexec_b32 s5, s5
; %bb.697:
	v_and_b32_e32 v10, 0xffff, v7
	v_or_b32_e32 v12, 0x10000, v7
	s_delay_alu instid0(VALU_DEP_2) | instskip(NEXT) | instid1(VALU_DEP_2)
	v_cmp_eq_u32_e32 vcc_lo, 0, v10
	v_cndmask_b32_e32 v10, v12, v7, vcc_lo
; %bb.698:
	s_or_b32 exec_lo, exec_lo, s5
	v_mul_lo_u32 v11, v11, s17
	s_ashr_i32 s5, s14, 31
	v_add_co_u32 v13, s6, s14, v53
	s_delay_alu instid0(VALU_DEP_1) | instskip(NEXT) | instid1(VALU_DEP_3)
	v_add_co_ci_u32_e64 v14, null, s5, 0, s6
	v_ashrrev_i32_e32 v12, 31, v11
	s_delay_alu instid0(VALU_DEP_2) | instskip(NEXT) | instid1(VALU_DEP_2)
	v_lshlrev_b64 v[13:14], 1, v[13:14]
	v_lshlrev_b64 v[11:12], 1, v[11:12]
	s_delay_alu instid0(VALU_DEP_1) | instskip(NEXT) | instid1(VALU_DEP_2)
	v_add_co_u32 v11, vcc_lo, s2, v11
	v_add_co_ci_u32_e32 v12, vcc_lo, s3, v12, vcc_lo
	s_delay_alu instid0(VALU_DEP_2) | instskip(NEXT) | instid1(VALU_DEP_2)
	v_add_co_u32 v11, vcc_lo, v11, v13
	v_add_co_ci_u32_e32 v12, vcc_lo, v12, v14, vcc_lo
	global_store_d16_hi_b16 v[11:12], v10, off offset:96
.LBB11_699:
	s_or_b32 exec_lo, exec_lo, s4
	s_waitcnt lgkmcnt(1)
	v_or_b32_e32 v10, 14, v9
	s_delay_alu instid0(VALU_DEP_1)
	v_cmp_gt_i32_e32 vcc_lo, s16, v10
	s_and_b32 exec_lo, exec_lo, vcc_lo
	s_cbranch_execz .LBB11_705
; %bb.700:
	v_and_b32_e32 v9, 0x7f800000, v8
	s_delay_alu instid0(VALU_DEP_1) | instskip(SKIP_1) | instid1(SALU_CYCLE_1)
	v_cmp_ne_u32_e32 vcc_lo, 0x7f800000, v9
                                        ; implicit-def: $vgpr9
	s_and_saveexec_b32 s4, vcc_lo
	s_xor_b32 s4, exec_lo, s4
; %bb.701:
	v_bfe_u32 v9, v8, 16, 1
	s_delay_alu instid0(VALU_DEP_1)
	v_add3_u32 v9, v8, v9, 0x7fff
; %bb.702:
	s_and_not1_saveexec_b32 s4, s4
; %bb.703:
	v_and_b32_e32 v9, 0xffff, v8
	v_or_b32_e32 v11, 0x10000, v8
	s_delay_alu instid0(VALU_DEP_2) | instskip(NEXT) | instid1(VALU_DEP_2)
	v_cmp_eq_u32_e32 vcc_lo, 0, v9
	v_cndmask_b32_e32 v9, v11, v8, vcc_lo
; %bb.704:
	s_or_b32 exec_lo, exec_lo, s4
	v_mul_lo_u32 v10, v10, s17
	s_ashr_i32 s4, s14, 31
	v_add_co_u32 v12, s5, s14, v53
	s_delay_alu instid0(VALU_DEP_1) | instskip(NEXT) | instid1(VALU_DEP_3)
	v_add_co_ci_u32_e64 v13, null, s4, 0, s5
	v_ashrrev_i32_e32 v11, 31, v10
	s_delay_alu instid0(VALU_DEP_2) | instskip(NEXT) | instid1(VALU_DEP_2)
	v_lshlrev_b64 v[12:13], 1, v[12:13]
	v_lshlrev_b64 v[10:11], 1, v[10:11]
	s_delay_alu instid0(VALU_DEP_1) | instskip(NEXT) | instid1(VALU_DEP_2)
	v_add_co_u32 v10, vcc_lo, s2, v10
	v_add_co_ci_u32_e32 v11, vcc_lo, s3, v11, vcc_lo
	s_delay_alu instid0(VALU_DEP_2) | instskip(NEXT) | instid1(VALU_DEP_2)
	v_add_co_u32 v10, vcc_lo, v10, v12
	v_add_co_ci_u32_e32 v11, vcc_lo, v11, v13, vcc_lo
	global_store_d16_hi_b16 v[10:11], v9, off offset:96
.LBB11_705:
	s_or_b32 exec_lo, exec_lo, s1
	s_cbranch_execnz .LBB11_866
.LBB11_706:
	v_mbcnt_lo_u32_b32 v9, -1, 0
	v_or_b32_e32 v11, s0, v53
	v_and_b32_e32 v0, 1, v0
	s_waitcnt lgkmcnt(1)
	s_delay_alu instid0(VALU_DEP_3) | instskip(NEXT) | instid1(VALU_DEP_1)
	v_xor_b32_e32 v10, 1, v9
	v_cmp_gt_i32_e32 vcc_lo, 32, v10
	v_cndmask_b32_e32 v9, v9, v10, vcc_lo
	v_cmp_eq_u32_e32 vcc_lo, 0, v0
	s_delay_alu instid0(VALU_DEP_2)
	v_lshlrev_b32_e32 v12, 2, v9
	ds_bpermute_b32 v10, v12, v1
	s_and_saveexec_b32 s4, vcc_lo
	s_cbranch_execz .LBB11_726
; %bb.707:
	v_or_b32_e32 v0, v55, v54
	v_cmp_gt_i32_e64 s1, s17, v11
	s_delay_alu instid0(VALU_DEP_2) | instskip(NEXT) | instid1(VALU_DEP_1)
	v_cmp_gt_i32_e64 s0, s16, v0
	s_and_b32 s0, s0, s1
	s_delay_alu instid0(SALU_CYCLE_1)
	s_and_b32 exec_lo, exec_lo, s0
	s_cbranch_execz .LBB11_726
; %bb.708:
	v_and_b32_e32 v9, 0x7f800000, v1
	s_delay_alu instid0(VALU_DEP_1) | instskip(NEXT) | instid1(VALU_DEP_1)
	v_cmp_ne_u32_e64 s0, 0x7f800000, v9
                                        ; implicit-def: $vgpr9
	s_and_saveexec_b32 s1, s0
	s_delay_alu instid0(SALU_CYCLE_1)
	s_xor_b32 s0, exec_lo, s1
; %bb.709:
	v_bfe_u32 v9, v1, 16, 1
	s_delay_alu instid0(VALU_DEP_1)
	v_add3_u32 v9, v1, v9, 0x7fff
; %bb.710:
	s_and_not1_saveexec_b32 s1, s0
; %bb.711:
	v_and_b32_e32 v9, 0xffff, v1
	v_or_b32_e32 v13, 0x10000, v1
	s_delay_alu instid0(VALU_DEP_2) | instskip(NEXT) | instid1(VALU_DEP_1)
	v_cmp_eq_u32_e64 s0, 0, v9
	v_cndmask_b32_e64 v9, v13, v1, s0
; %bb.712:
	s_or_b32 exec_lo, exec_lo, s1
	s_waitcnt lgkmcnt(0)
	v_and_b32_e32 v1, 0x7f800000, v10
                                        ; implicit-def: $vgpr14
	s_delay_alu instid0(VALU_DEP_1) | instskip(NEXT) | instid1(VALU_DEP_1)
	v_cmp_ne_u32_e64 s0, 0x7f800000, v1
	s_and_saveexec_b32 s1, s0
	s_delay_alu instid0(SALU_CYCLE_1)
	s_xor_b32 s0, exec_lo, s1
; %bb.713:
	v_bfe_u32 v1, v10, 16, 1
	s_delay_alu instid0(VALU_DEP_1)
	v_add3_u32 v14, v10, v1, 0x7fff
                                        ; implicit-def: $vgpr10
; %bb.714:
	s_and_not1_saveexec_b32 s1, s0
; %bb.715:
	v_and_b32_e32 v1, 0xffff, v10
	v_or_b32_e32 v13, 0x10000, v10
	s_delay_alu instid0(VALU_DEP_2) | instskip(NEXT) | instid1(VALU_DEP_1)
	v_cmp_eq_u32_e64 s0, 0, v1
	v_cndmask_b32_e64 v14, v13, v10, s0
; %bb.716:
	s_or_b32 exec_lo, exec_lo, s1
	v_mul_lo_u32 v0, v0, s17
	s_ashr_i32 s0, s14, 31
	v_add_co_u32 v15, s1, s14, v53
	s_delay_alu instid0(VALU_DEP_1) | instskip(SKIP_3) | instid1(VALU_DEP_4)
	v_add_co_ci_u32_e64 v16, null, s0, 0, s1
	v_and_b32_e32 v13, 0xffff0000, v9
	v_and_b32_e32 v14, 0xffff0000, v14
	v_ashrrev_i32_e32 v1, 31, v0
	v_lshlrev_b64 v[15:16], 1, v[15:16]
	s_mov_b32 s1, 0
	s_delay_alu instid0(VALU_DEP_2) | instskip(NEXT) | instid1(VALU_DEP_1)
	v_lshlrev_b64 v[0:1], 1, v[0:1]
	v_add_co_u32 v0, s0, s2, v0
	s_delay_alu instid0(VALU_DEP_1) | instskip(NEXT) | instid1(VALU_DEP_2)
	v_add_co_ci_u32_e64 v1, s0, s3, v1, s0
	v_add_co_u32 v0, s0, v0, v15
	s_delay_alu instid0(VALU_DEP_1)
	v_add_co_ci_u32_e64 v1, s0, v1, v16, s0
	global_load_b32 v10, v[0:1], off offset:96
	s_branch .LBB11_718
.LBB11_717:                             ;   in Loop: Header=BB11_718 Depth=1
	s_or_b32 exec_lo, exec_lo, s5
	v_lshrrev_b32_e32 v9, 16, v9
	s_delay_alu instid0(VALU_DEP_1) | instskip(SKIP_4) | instid1(VALU_DEP_2)
	v_and_or_b32 v9, 0xffff0000, v16, v9
	global_atomic_cmpswap_b32 v9, v[0:1], v[9:10], off offset:96 glc
	s_waitcnt vmcnt(0)
	v_cmp_eq_u32_e64 s0, v9, v10
	v_mov_b32_e32 v10, v9
	s_or_b32 s1, s0, s1
	s_delay_alu instid0(SALU_CYCLE_1)
	s_and_not1_b32 exec_lo, exec_lo, s1
	s_cbranch_execz .LBB11_726
.LBB11_718:                             ; =>This Inner Loop Header: Depth=1
	s_waitcnt vmcnt(0)
	v_lshlrev_b32_e32 v9, 16, v10
	s_delay_alu instid0(VALU_DEP_1) | instskip(NEXT) | instid1(VALU_DEP_1)
	v_add_f32_e32 v15, v13, v9
	v_and_b32_e32 v9, 0x7f800000, v15
	s_delay_alu instid0(VALU_DEP_1) | instskip(NEXT) | instid1(VALU_DEP_1)
	v_cmp_ne_u32_e64 s0, 0x7f800000, v9
                                        ; implicit-def: $vgpr9
	s_and_saveexec_b32 s5, s0
	s_delay_alu instid0(SALU_CYCLE_1)
	s_xor_b32 s0, exec_lo, s5
; %bb.719:                              ;   in Loop: Header=BB11_718 Depth=1
	v_bfe_u32 v9, v15, 16, 1
	s_delay_alu instid0(VALU_DEP_1)
	v_add3_u32 v9, v15, v9, 0x7fff
                                        ; implicit-def: $vgpr15
; %bb.720:                              ;   in Loop: Header=BB11_718 Depth=1
	s_and_not1_saveexec_b32 s5, s0
; %bb.721:                              ;   in Loop: Header=BB11_718 Depth=1
	v_and_b32_e32 v9, 0xffff, v15
	v_or_b32_e32 v16, 0x10000, v15
	s_delay_alu instid0(VALU_DEP_2) | instskip(NEXT) | instid1(VALU_DEP_1)
	v_cmp_eq_u32_e64 s0, 0, v9
	v_cndmask_b32_e64 v9, v16, v15, s0
; %bb.722:                              ;   in Loop: Header=BB11_718 Depth=1
	s_or_b32 exec_lo, exec_lo, s5
	v_and_b32_e32 v15, 0xffff0000, v10
	s_delay_alu instid0(VALU_DEP_1) | instskip(NEXT) | instid1(VALU_DEP_1)
	v_add_f32_e32 v15, v14, v15
	v_and_b32_e32 v16, 0x7f800000, v15
	s_delay_alu instid0(VALU_DEP_1) | instskip(NEXT) | instid1(VALU_DEP_1)
	v_cmp_ne_u32_e64 s0, 0x7f800000, v16
                                        ; implicit-def: $vgpr16
	s_and_saveexec_b32 s5, s0
	s_delay_alu instid0(SALU_CYCLE_1)
	s_xor_b32 s0, exec_lo, s5
; %bb.723:                              ;   in Loop: Header=BB11_718 Depth=1
	v_bfe_u32 v16, v15, 16, 1
	s_delay_alu instid0(VALU_DEP_1)
	v_add3_u32 v16, v15, v16, 0x7fff
                                        ; implicit-def: $vgpr15
; %bb.724:                              ;   in Loop: Header=BB11_718 Depth=1
	s_and_not1_saveexec_b32 s5, s0
	s_cbranch_execz .LBB11_717
; %bb.725:                              ;   in Loop: Header=BB11_718 Depth=1
	v_and_b32_e32 v16, 0xffff, v15
	v_or_b32_e32 v17, 0x10000, v15
	s_delay_alu instid0(VALU_DEP_2) | instskip(NEXT) | instid1(VALU_DEP_1)
	v_cmp_eq_u32_e64 s0, 0, v16
	v_cndmask_b32_e64 v16, v17, v15, s0
	s_branch .LBB11_717
.LBB11_726:
	s_or_b32 exec_lo, exec_lo, s4
	ds_bpermute_b32 v1, v12, v2
	s_and_saveexec_b32 s4, vcc_lo
	s_cbranch_execz .LBB11_746
; %bb.727:
	v_or3_b32 v0, v54, v55, 2
	v_cmp_gt_i32_e64 s1, s17, v11
	s_delay_alu instid0(VALU_DEP_2) | instskip(NEXT) | instid1(VALU_DEP_1)
	v_cmp_gt_i32_e64 s0, s16, v0
	s_and_b32 s0, s0, s1
	s_delay_alu instid0(SALU_CYCLE_1)
	s_and_b32 exec_lo, exec_lo, s0
	s_cbranch_execz .LBB11_746
; %bb.728:
	v_and_b32_e32 v9, 0x7f800000, v2
	s_delay_alu instid0(VALU_DEP_1) | instskip(NEXT) | instid1(VALU_DEP_1)
	v_cmp_ne_u32_e64 s0, 0x7f800000, v9
                                        ; implicit-def: $vgpr9
	s_and_saveexec_b32 s1, s0
	s_delay_alu instid0(SALU_CYCLE_1)
	s_xor_b32 s0, exec_lo, s1
; %bb.729:
	v_bfe_u32 v9, v2, 16, 1
	s_delay_alu instid0(VALU_DEP_1)
	v_add3_u32 v9, v2, v9, 0x7fff
; %bb.730:
	s_and_not1_saveexec_b32 s1, s0
	s_cbranch_execz .LBB11_732
; %bb.731:
	v_and_b32_e32 v9, 0xffff, v2
	s_waitcnt lgkmcnt(1)
	v_or_b32_e32 v10, 0x10000, v2
	s_delay_alu instid0(VALU_DEP_2) | instskip(NEXT) | instid1(VALU_DEP_1)
	v_cmp_eq_u32_e64 s0, 0, v9
	v_cndmask_b32_e64 v9, v10, v2, s0
.LBB11_732:
	s_or_b32 exec_lo, exec_lo, s1
	s_waitcnt lgkmcnt(0)
	v_and_b32_e32 v2, 0x7f800000, v1
                                        ; implicit-def: $vgpr13
	s_delay_alu instid0(VALU_DEP_1) | instskip(NEXT) | instid1(VALU_DEP_1)
	v_cmp_ne_u32_e64 s0, 0x7f800000, v2
	s_and_saveexec_b32 s1, s0
	s_delay_alu instid0(SALU_CYCLE_1)
	s_xor_b32 s0, exec_lo, s1
; %bb.733:
	v_bfe_u32 v2, v1, 16, 1
	s_delay_alu instid0(VALU_DEP_1)
	v_add3_u32 v13, v1, v2, 0x7fff
                                        ; implicit-def: $vgpr1
; %bb.734:
	s_and_not1_saveexec_b32 s1, s0
; %bb.735:
	v_and_b32_e32 v2, 0xffff, v1
	v_or_b32_e32 v10, 0x10000, v1
	s_delay_alu instid0(VALU_DEP_2) | instskip(NEXT) | instid1(VALU_DEP_1)
	v_cmp_eq_u32_e64 s0, 0, v2
	v_cndmask_b32_e64 v13, v10, v1, s0
; %bb.736:
	s_or_b32 exec_lo, exec_lo, s1
	v_mul_lo_u32 v0, v0, s17
	s_ashr_i32 s0, s14, 31
	v_add_co_u32 v14, s1, s14, v53
	s_delay_alu instid0(VALU_DEP_1) | instskip(SKIP_3) | instid1(VALU_DEP_4)
	v_add_co_ci_u32_e64 v15, null, s0, 0, s1
	v_and_b32_e32 v2, 0xffff0000, v9
	v_and_b32_e32 v13, 0xffff0000, v13
	v_ashrrev_i32_e32 v1, 31, v0
	v_lshlrev_b64 v[14:15], 1, v[14:15]
	s_mov_b32 s1, 0
	s_delay_alu instid0(VALU_DEP_2) | instskip(NEXT) | instid1(VALU_DEP_1)
	v_lshlrev_b64 v[0:1], 1, v[0:1]
	v_add_co_u32 v0, s0, s2, v0
	s_delay_alu instid0(VALU_DEP_1) | instskip(NEXT) | instid1(VALU_DEP_2)
	v_add_co_ci_u32_e64 v1, s0, s3, v1, s0
	v_add_co_u32 v0, s0, v0, v14
	s_delay_alu instid0(VALU_DEP_1)
	v_add_co_ci_u32_e64 v1, s0, v1, v15, s0
	global_load_b32 v10, v[0:1], off offset:96
	s_branch .LBB11_738
.LBB11_737:                             ;   in Loop: Header=BB11_738 Depth=1
	s_or_b32 exec_lo, exec_lo, s5
	v_lshrrev_b32_e32 v9, 16, v9
	s_delay_alu instid0(VALU_DEP_1) | instskip(SKIP_4) | instid1(VALU_DEP_2)
	v_and_or_b32 v9, 0xffff0000, v15, v9
	global_atomic_cmpswap_b32 v9, v[0:1], v[9:10], off offset:96 glc
	s_waitcnt vmcnt(0)
	v_cmp_eq_u32_e64 s0, v9, v10
	v_mov_b32_e32 v10, v9
	s_or_b32 s1, s0, s1
	s_delay_alu instid0(SALU_CYCLE_1)
	s_and_not1_b32 exec_lo, exec_lo, s1
	s_cbranch_execz .LBB11_746
.LBB11_738:                             ; =>This Inner Loop Header: Depth=1
	s_waitcnt vmcnt(0)
	v_lshlrev_b32_e32 v9, 16, v10
	s_delay_alu instid0(VALU_DEP_1) | instskip(NEXT) | instid1(VALU_DEP_1)
	v_add_f32_e32 v14, v2, v9
	v_and_b32_e32 v9, 0x7f800000, v14
	s_delay_alu instid0(VALU_DEP_1) | instskip(NEXT) | instid1(VALU_DEP_1)
	v_cmp_ne_u32_e64 s0, 0x7f800000, v9
                                        ; implicit-def: $vgpr9
	s_and_saveexec_b32 s5, s0
	s_delay_alu instid0(SALU_CYCLE_1)
	s_xor_b32 s0, exec_lo, s5
; %bb.739:                              ;   in Loop: Header=BB11_738 Depth=1
	v_bfe_u32 v9, v14, 16, 1
	s_delay_alu instid0(VALU_DEP_1)
	v_add3_u32 v9, v14, v9, 0x7fff
                                        ; implicit-def: $vgpr14
; %bb.740:                              ;   in Loop: Header=BB11_738 Depth=1
	s_and_not1_saveexec_b32 s5, s0
; %bb.741:                              ;   in Loop: Header=BB11_738 Depth=1
	v_and_b32_e32 v9, 0xffff, v14
	v_or_b32_e32 v15, 0x10000, v14
	s_delay_alu instid0(VALU_DEP_2) | instskip(NEXT) | instid1(VALU_DEP_1)
	v_cmp_eq_u32_e64 s0, 0, v9
	v_cndmask_b32_e64 v9, v15, v14, s0
; %bb.742:                              ;   in Loop: Header=BB11_738 Depth=1
	s_or_b32 exec_lo, exec_lo, s5
	v_and_b32_e32 v14, 0xffff0000, v10
	s_delay_alu instid0(VALU_DEP_1) | instskip(NEXT) | instid1(VALU_DEP_1)
	v_add_f32_e32 v14, v13, v14
	v_and_b32_e32 v15, 0x7f800000, v14
	s_delay_alu instid0(VALU_DEP_1) | instskip(NEXT) | instid1(VALU_DEP_1)
	v_cmp_ne_u32_e64 s0, 0x7f800000, v15
                                        ; implicit-def: $vgpr15
	s_and_saveexec_b32 s5, s0
	s_delay_alu instid0(SALU_CYCLE_1)
	s_xor_b32 s0, exec_lo, s5
; %bb.743:                              ;   in Loop: Header=BB11_738 Depth=1
	v_bfe_u32 v15, v14, 16, 1
	s_delay_alu instid0(VALU_DEP_1)
	v_add3_u32 v15, v14, v15, 0x7fff
                                        ; implicit-def: $vgpr14
; %bb.744:                              ;   in Loop: Header=BB11_738 Depth=1
	s_and_not1_saveexec_b32 s5, s0
	s_cbranch_execz .LBB11_737
; %bb.745:                              ;   in Loop: Header=BB11_738 Depth=1
	v_and_b32_e32 v15, 0xffff, v14
	v_or_b32_e32 v16, 0x10000, v14
	s_delay_alu instid0(VALU_DEP_2) | instskip(NEXT) | instid1(VALU_DEP_1)
	v_cmp_eq_u32_e64 s0, 0, v15
	v_cndmask_b32_e64 v15, v16, v14, s0
	s_branch .LBB11_737
.LBB11_746:
	s_or_b32 exec_lo, exec_lo, s4
	s_waitcnt lgkmcnt(0)
	ds_bpermute_b32 v1, v12, v3
	s_and_saveexec_b32 s4, vcc_lo
	s_cbranch_execz .LBB11_766
; %bb.747:
	v_or3_b32 v0, v54, v55, 4
	v_cmp_gt_i32_e64 s1, s17, v11
	s_delay_alu instid0(VALU_DEP_2) | instskip(NEXT) | instid1(VALU_DEP_1)
	v_cmp_gt_i32_e64 s0, s16, v0
	s_and_b32 s0, s0, s1
	s_delay_alu instid0(SALU_CYCLE_1)
	s_and_b32 exec_lo, exec_lo, s0
	s_cbranch_execz .LBB11_766
; %bb.748:
	v_and_b32_e32 v2, 0x7f800000, v3
	s_delay_alu instid0(VALU_DEP_1) | instskip(NEXT) | instid1(VALU_DEP_1)
	v_cmp_ne_u32_e64 s0, 0x7f800000, v2
                                        ; implicit-def: $vgpr2
	s_and_saveexec_b32 s1, s0
	s_delay_alu instid0(SALU_CYCLE_1)
	s_xor_b32 s0, exec_lo, s1
; %bb.749:
	v_bfe_u32 v2, v3, 16, 1
	s_delay_alu instid0(VALU_DEP_1)
	v_add3_u32 v2, v3, v2, 0x7fff
; %bb.750:
	s_and_not1_saveexec_b32 s1, s0
; %bb.751:
	v_and_b32_e32 v2, 0xffff, v3
	v_or_b32_e32 v9, 0x10000, v3
	s_delay_alu instid0(VALU_DEP_2) | instskip(NEXT) | instid1(VALU_DEP_1)
	v_cmp_eq_u32_e64 s0, 0, v2
	v_cndmask_b32_e64 v2, v9, v3, s0
; %bb.752:
	s_or_b32 exec_lo, exec_lo, s1
	s_waitcnt lgkmcnt(0)
	v_and_b32_e32 v3, 0x7f800000, v1
                                        ; implicit-def: $vgpr10
	s_delay_alu instid0(VALU_DEP_1) | instskip(NEXT) | instid1(VALU_DEP_1)
	v_cmp_ne_u32_e64 s0, 0x7f800000, v3
	s_and_saveexec_b32 s1, s0
	s_delay_alu instid0(SALU_CYCLE_1)
	s_xor_b32 s0, exec_lo, s1
; %bb.753:
	v_bfe_u32 v3, v1, 16, 1
	s_delay_alu instid0(VALU_DEP_1)
	v_add3_u32 v10, v1, v3, 0x7fff
                                        ; implicit-def: $vgpr1
; %bb.754:
	s_and_not1_saveexec_b32 s1, s0
; %bb.755:
	v_and_b32_e32 v3, 0xffff, v1
	v_or_b32_e32 v9, 0x10000, v1
	s_delay_alu instid0(VALU_DEP_2) | instskip(NEXT) | instid1(VALU_DEP_1)
	v_cmp_eq_u32_e64 s0, 0, v3
	v_cndmask_b32_e64 v10, v9, v1, s0
; %bb.756:
	s_or_b32 exec_lo, exec_lo, s1
	v_mul_lo_u32 v0, v0, s17
	s_ashr_i32 s0, s14, 31
	v_add_co_u32 v13, s1, s14, v53
	s_delay_alu instid0(VALU_DEP_1) | instskip(SKIP_3) | instid1(VALU_DEP_4)
	v_add_co_ci_u32_e64 v14, null, s0, 0, s1
	v_and_b32_e32 v9, 0xffff0000, v2
	v_and_b32_e32 v10, 0xffff0000, v10
	v_ashrrev_i32_e32 v1, 31, v0
	v_lshlrev_b64 v[13:14], 1, v[13:14]
	s_mov_b32 s1, 0
	s_delay_alu instid0(VALU_DEP_2) | instskip(NEXT) | instid1(VALU_DEP_1)
	v_lshlrev_b64 v[0:1], 1, v[0:1]
	v_add_co_u32 v0, s0, s2, v0
	s_delay_alu instid0(VALU_DEP_1) | instskip(NEXT) | instid1(VALU_DEP_2)
	v_add_co_ci_u32_e64 v1, s0, s3, v1, s0
	v_add_co_u32 v0, s0, v0, v13
	s_delay_alu instid0(VALU_DEP_1)
	v_add_co_ci_u32_e64 v1, s0, v1, v14, s0
	global_load_b32 v3, v[0:1], off offset:96
	s_branch .LBB11_758
.LBB11_757:                             ;   in Loop: Header=BB11_758 Depth=1
	s_or_b32 exec_lo, exec_lo, s5
	v_lshrrev_b32_e32 v2, 16, v2
	s_delay_alu instid0(VALU_DEP_1) | instskip(SKIP_4) | instid1(VALU_DEP_2)
	v_and_or_b32 v2, 0xffff0000, v14, v2
	global_atomic_cmpswap_b32 v2, v[0:1], v[2:3], off offset:96 glc
	s_waitcnt vmcnt(0)
	v_cmp_eq_u32_e64 s0, v2, v3
	v_mov_b32_e32 v3, v2
	s_or_b32 s1, s0, s1
	s_delay_alu instid0(SALU_CYCLE_1)
	s_and_not1_b32 exec_lo, exec_lo, s1
	s_cbranch_execz .LBB11_766
.LBB11_758:                             ; =>This Inner Loop Header: Depth=1
	s_waitcnt vmcnt(0)
	v_lshlrev_b32_e32 v2, 16, v3
	s_delay_alu instid0(VALU_DEP_1) | instskip(NEXT) | instid1(VALU_DEP_1)
	v_add_f32_e32 v13, v9, v2
	v_and_b32_e32 v2, 0x7f800000, v13
	s_delay_alu instid0(VALU_DEP_1) | instskip(NEXT) | instid1(VALU_DEP_1)
	v_cmp_ne_u32_e64 s0, 0x7f800000, v2
                                        ; implicit-def: $vgpr2
	s_and_saveexec_b32 s5, s0
	s_delay_alu instid0(SALU_CYCLE_1)
	s_xor_b32 s0, exec_lo, s5
; %bb.759:                              ;   in Loop: Header=BB11_758 Depth=1
	v_bfe_u32 v2, v13, 16, 1
	s_delay_alu instid0(VALU_DEP_1)
	v_add3_u32 v2, v13, v2, 0x7fff
                                        ; implicit-def: $vgpr13
; %bb.760:                              ;   in Loop: Header=BB11_758 Depth=1
	s_and_not1_saveexec_b32 s5, s0
; %bb.761:                              ;   in Loop: Header=BB11_758 Depth=1
	v_and_b32_e32 v2, 0xffff, v13
	v_or_b32_e32 v14, 0x10000, v13
	s_delay_alu instid0(VALU_DEP_2) | instskip(NEXT) | instid1(VALU_DEP_1)
	v_cmp_eq_u32_e64 s0, 0, v2
	v_cndmask_b32_e64 v2, v14, v13, s0
; %bb.762:                              ;   in Loop: Header=BB11_758 Depth=1
	s_or_b32 exec_lo, exec_lo, s5
	v_and_b32_e32 v13, 0xffff0000, v3
	s_delay_alu instid0(VALU_DEP_1) | instskip(NEXT) | instid1(VALU_DEP_1)
	v_add_f32_e32 v13, v10, v13
	v_and_b32_e32 v14, 0x7f800000, v13
	s_delay_alu instid0(VALU_DEP_1) | instskip(NEXT) | instid1(VALU_DEP_1)
	v_cmp_ne_u32_e64 s0, 0x7f800000, v14
                                        ; implicit-def: $vgpr14
	s_and_saveexec_b32 s5, s0
	s_delay_alu instid0(SALU_CYCLE_1)
	s_xor_b32 s0, exec_lo, s5
; %bb.763:                              ;   in Loop: Header=BB11_758 Depth=1
	v_bfe_u32 v14, v13, 16, 1
	s_delay_alu instid0(VALU_DEP_1)
	v_add3_u32 v14, v13, v14, 0x7fff
                                        ; implicit-def: $vgpr13
; %bb.764:                              ;   in Loop: Header=BB11_758 Depth=1
	s_and_not1_saveexec_b32 s5, s0
	s_cbranch_execz .LBB11_757
; %bb.765:                              ;   in Loop: Header=BB11_758 Depth=1
	v_and_b32_e32 v14, 0xffff, v13
	v_or_b32_e32 v15, 0x10000, v13
	s_delay_alu instid0(VALU_DEP_2) | instskip(NEXT) | instid1(VALU_DEP_1)
	v_cmp_eq_u32_e64 s0, 0, v14
	v_cndmask_b32_e64 v14, v15, v13, s0
	s_branch .LBB11_757
.LBB11_766:
	s_or_b32 exec_lo, exec_lo, s4
	s_waitcnt lgkmcnt(0)
	ds_bpermute_b32 v1, v12, v4
	s_and_saveexec_b32 s4, vcc_lo
	s_cbranch_execz .LBB11_786
; %bb.767:
	v_or3_b32 v0, v54, v55, 6
	v_cmp_gt_i32_e64 s1, s17, v11
	s_delay_alu instid0(VALU_DEP_2) | instskip(NEXT) | instid1(VALU_DEP_1)
	v_cmp_gt_i32_e64 s0, s16, v0
	s_and_b32 s0, s0, s1
	s_delay_alu instid0(SALU_CYCLE_1)
	s_and_b32 exec_lo, exec_lo, s0
	s_cbranch_execz .LBB11_786
; %bb.768:
	v_and_b32_e32 v2, 0x7f800000, v4
	s_delay_alu instid0(VALU_DEP_1) | instskip(NEXT) | instid1(VALU_DEP_1)
	v_cmp_ne_u32_e64 s0, 0x7f800000, v2
                                        ; implicit-def: $vgpr2
	s_and_saveexec_b32 s1, s0
	s_delay_alu instid0(SALU_CYCLE_1)
	s_xor_b32 s0, exec_lo, s1
; %bb.769:
	v_bfe_u32 v2, v4, 16, 1
	s_delay_alu instid0(VALU_DEP_1)
	v_add3_u32 v2, v4, v2, 0x7fff
; %bb.770:
	s_and_not1_saveexec_b32 s1, s0
; %bb.771:
	v_and_b32_e32 v2, 0xffff, v4
	v_or_b32_e32 v3, 0x10000, v4
	s_delay_alu instid0(VALU_DEP_2) | instskip(NEXT) | instid1(VALU_DEP_1)
	v_cmp_eq_u32_e64 s0, 0, v2
	v_cndmask_b32_e64 v2, v3, v4, s0
; %bb.772:
	s_or_b32 exec_lo, exec_lo, s1
	s_waitcnt lgkmcnt(0)
	v_and_b32_e32 v3, 0x7f800000, v1
                                        ; implicit-def: $vgpr9
	s_delay_alu instid0(VALU_DEP_1) | instskip(NEXT) | instid1(VALU_DEP_1)
	v_cmp_ne_u32_e64 s0, 0x7f800000, v3
	s_and_saveexec_b32 s1, s0
	s_delay_alu instid0(SALU_CYCLE_1)
	s_xor_b32 s0, exec_lo, s1
; %bb.773:
	v_bfe_u32 v3, v1, 16, 1
	s_delay_alu instid0(VALU_DEP_1)
	v_add3_u32 v9, v1, v3, 0x7fff
                                        ; implicit-def: $vgpr1
; %bb.774:
	s_and_not1_saveexec_b32 s1, s0
; %bb.775:
	v_and_b32_e32 v3, 0xffff, v1
	v_or_b32_e32 v4, 0x10000, v1
	s_delay_alu instid0(VALU_DEP_2) | instskip(NEXT) | instid1(VALU_DEP_1)
	v_cmp_eq_u32_e64 s0, 0, v3
	v_cndmask_b32_e64 v9, v4, v1, s0
; %bb.776:
	s_or_b32 exec_lo, exec_lo, s1
	v_mul_lo_u32 v0, v0, s17
	s_ashr_i32 s0, s14, 31
	v_add_co_u32 v3, s1, s14, v53
	s_delay_alu instid0(VALU_DEP_1) | instskip(SKIP_2) | instid1(VALU_DEP_4)
	v_add_co_ci_u32_e64 v4, null, s0, 0, s1
	v_and_b32_e32 v9, 0xffff0000, v9
	s_mov_b32 s1, 0
	v_ashrrev_i32_e32 v1, 31, v0
	s_delay_alu instid0(VALU_DEP_3) | instskip(NEXT) | instid1(VALU_DEP_2)
	v_lshlrev_b64 v[3:4], 1, v[3:4]
	v_lshlrev_b64 v[0:1], 1, v[0:1]
	s_delay_alu instid0(VALU_DEP_1) | instskip(NEXT) | instid1(VALU_DEP_1)
	v_add_co_u32 v0, s0, s2, v0
	v_add_co_ci_u32_e64 v1, s0, s3, v1, s0
	s_delay_alu instid0(VALU_DEP_2) | instskip(NEXT) | instid1(VALU_DEP_1)
	v_add_co_u32 v0, s0, v0, v3
	v_add_co_ci_u32_e64 v1, s0, v1, v4, s0
	v_and_b32_e32 v4, 0xffff0000, v2
	global_load_b32 v3, v[0:1], off offset:96
	s_branch .LBB11_778
.LBB11_777:                             ;   in Loop: Header=BB11_778 Depth=1
	s_or_b32 exec_lo, exec_lo, s5
	v_lshrrev_b32_e32 v2, 16, v2
	s_delay_alu instid0(VALU_DEP_1) | instskip(SKIP_4) | instid1(VALU_DEP_2)
	v_and_or_b32 v2, 0xffff0000, v13, v2
	global_atomic_cmpswap_b32 v2, v[0:1], v[2:3], off offset:96 glc
	s_waitcnt vmcnt(0)
	v_cmp_eq_u32_e64 s0, v2, v3
	v_mov_b32_e32 v3, v2
	s_or_b32 s1, s0, s1
	s_delay_alu instid0(SALU_CYCLE_1)
	s_and_not1_b32 exec_lo, exec_lo, s1
	s_cbranch_execz .LBB11_786
.LBB11_778:                             ; =>This Inner Loop Header: Depth=1
	s_waitcnt vmcnt(0)
	v_lshlrev_b32_e32 v2, 16, v3
	s_delay_alu instid0(VALU_DEP_1) | instskip(NEXT) | instid1(VALU_DEP_1)
	v_add_f32_e32 v10, v4, v2
	v_and_b32_e32 v2, 0x7f800000, v10
	s_delay_alu instid0(VALU_DEP_1) | instskip(NEXT) | instid1(VALU_DEP_1)
	v_cmp_ne_u32_e64 s0, 0x7f800000, v2
                                        ; implicit-def: $vgpr2
	s_and_saveexec_b32 s5, s0
	s_delay_alu instid0(SALU_CYCLE_1)
	s_xor_b32 s0, exec_lo, s5
; %bb.779:                              ;   in Loop: Header=BB11_778 Depth=1
	v_bfe_u32 v2, v10, 16, 1
	s_delay_alu instid0(VALU_DEP_1)
	v_add3_u32 v2, v10, v2, 0x7fff
                                        ; implicit-def: $vgpr10
; %bb.780:                              ;   in Loop: Header=BB11_778 Depth=1
	s_and_not1_saveexec_b32 s5, s0
; %bb.781:                              ;   in Loop: Header=BB11_778 Depth=1
	v_and_b32_e32 v2, 0xffff, v10
	v_or_b32_e32 v13, 0x10000, v10
	s_delay_alu instid0(VALU_DEP_2) | instskip(NEXT) | instid1(VALU_DEP_1)
	v_cmp_eq_u32_e64 s0, 0, v2
	v_cndmask_b32_e64 v2, v13, v10, s0
; %bb.782:                              ;   in Loop: Header=BB11_778 Depth=1
	s_or_b32 exec_lo, exec_lo, s5
	v_and_b32_e32 v10, 0xffff0000, v3
	s_delay_alu instid0(VALU_DEP_1) | instskip(NEXT) | instid1(VALU_DEP_1)
	v_add_f32_e32 v10, v9, v10
	v_and_b32_e32 v13, 0x7f800000, v10
	s_delay_alu instid0(VALU_DEP_1) | instskip(NEXT) | instid1(VALU_DEP_1)
	v_cmp_ne_u32_e64 s0, 0x7f800000, v13
                                        ; implicit-def: $vgpr13
	s_and_saveexec_b32 s5, s0
	s_delay_alu instid0(SALU_CYCLE_1)
	s_xor_b32 s0, exec_lo, s5
; %bb.783:                              ;   in Loop: Header=BB11_778 Depth=1
	v_bfe_u32 v13, v10, 16, 1
	s_delay_alu instid0(VALU_DEP_1)
	v_add3_u32 v13, v10, v13, 0x7fff
                                        ; implicit-def: $vgpr10
; %bb.784:                              ;   in Loop: Header=BB11_778 Depth=1
	s_and_not1_saveexec_b32 s5, s0
	s_cbranch_execz .LBB11_777
; %bb.785:                              ;   in Loop: Header=BB11_778 Depth=1
	v_and_b32_e32 v13, 0xffff, v10
	v_or_b32_e32 v14, 0x10000, v10
	s_delay_alu instid0(VALU_DEP_2) | instskip(NEXT) | instid1(VALU_DEP_1)
	v_cmp_eq_u32_e64 s0, 0, v13
	v_cndmask_b32_e64 v13, v14, v10, s0
	s_branch .LBB11_777
.LBB11_786:
	s_or_b32 exec_lo, exec_lo, s4
	s_waitcnt lgkmcnt(0)
	ds_bpermute_b32 v1, v12, v5
	s_and_saveexec_b32 s4, vcc_lo
	s_cbranch_execz .LBB11_806
; %bb.787:
	v_or3_b32 v0, v54, v55, 8
	v_cmp_gt_i32_e64 s1, s17, v11
	s_delay_alu instid0(VALU_DEP_2) | instskip(NEXT) | instid1(VALU_DEP_1)
	v_cmp_gt_i32_e64 s0, s16, v0
	s_and_b32 s0, s0, s1
	s_delay_alu instid0(SALU_CYCLE_1)
	s_and_b32 exec_lo, exec_lo, s0
	s_cbranch_execz .LBB11_806
; %bb.788:
	v_and_b32_e32 v2, 0x7f800000, v5
	s_delay_alu instid0(VALU_DEP_1) | instskip(NEXT) | instid1(VALU_DEP_1)
	v_cmp_ne_u32_e64 s0, 0x7f800000, v2
                                        ; implicit-def: $vgpr2
	s_and_saveexec_b32 s1, s0
	s_delay_alu instid0(SALU_CYCLE_1)
	s_xor_b32 s0, exec_lo, s1
; %bb.789:
	v_bfe_u32 v2, v5, 16, 1
	s_delay_alu instid0(VALU_DEP_1)
	v_add3_u32 v2, v5, v2, 0x7fff
; %bb.790:
	s_and_not1_saveexec_b32 s1, s0
; %bb.791:
	v_and_b32_e32 v2, 0xffff, v5
	v_or_b32_e32 v3, 0x10000, v5
	s_delay_alu instid0(VALU_DEP_2) | instskip(NEXT) | instid1(VALU_DEP_1)
	v_cmp_eq_u32_e64 s0, 0, v2
	v_cndmask_b32_e64 v2, v3, v5, s0
; %bb.792:
	s_or_b32 exec_lo, exec_lo, s1
	s_waitcnt lgkmcnt(0)
	v_and_b32_e32 v3, 0x7f800000, v1
                                        ; implicit-def: $vgpr5
	s_delay_alu instid0(VALU_DEP_1) | instskip(NEXT) | instid1(VALU_DEP_1)
	v_cmp_ne_u32_e64 s0, 0x7f800000, v3
	s_and_saveexec_b32 s1, s0
	s_delay_alu instid0(SALU_CYCLE_1)
	s_xor_b32 s0, exec_lo, s1
; %bb.793:
	v_bfe_u32 v3, v1, 16, 1
	s_delay_alu instid0(VALU_DEP_1)
	v_add3_u32 v5, v1, v3, 0x7fff
                                        ; implicit-def: $vgpr1
; %bb.794:
	s_and_not1_saveexec_b32 s1, s0
; %bb.795:
	v_and_b32_e32 v3, 0xffff, v1
	v_or_b32_e32 v4, 0x10000, v1
	s_delay_alu instid0(VALU_DEP_2) | instskip(NEXT) | instid1(VALU_DEP_1)
	v_cmp_eq_u32_e64 s0, 0, v3
	v_cndmask_b32_e64 v5, v4, v1, s0
; %bb.796:
	s_or_b32 exec_lo, exec_lo, s1
	v_mul_lo_u32 v0, v0, s17
	s_ashr_i32 s0, s14, 31
	v_add_co_u32 v3, s1, s14, v53
	s_delay_alu instid0(VALU_DEP_1) | instskip(SKIP_2) | instid1(VALU_DEP_4)
	v_add_co_ci_u32_e64 v4, null, s0, 0, s1
	v_and_b32_e32 v5, 0xffff0000, v5
	s_mov_b32 s1, 0
	v_ashrrev_i32_e32 v1, 31, v0
	s_delay_alu instid0(VALU_DEP_3) | instskip(NEXT) | instid1(VALU_DEP_2)
	v_lshlrev_b64 v[3:4], 1, v[3:4]
	v_lshlrev_b64 v[0:1], 1, v[0:1]
	s_delay_alu instid0(VALU_DEP_1) | instskip(NEXT) | instid1(VALU_DEP_1)
	v_add_co_u32 v0, s0, s2, v0
	v_add_co_ci_u32_e64 v1, s0, s3, v1, s0
	s_delay_alu instid0(VALU_DEP_2) | instskip(NEXT) | instid1(VALU_DEP_1)
	v_add_co_u32 v0, s0, v0, v3
	v_add_co_ci_u32_e64 v1, s0, v1, v4, s0
	v_and_b32_e32 v4, 0xffff0000, v2
	global_load_b32 v3, v[0:1], off offset:96
	s_branch .LBB11_798
.LBB11_797:                             ;   in Loop: Header=BB11_798 Depth=1
	s_or_b32 exec_lo, exec_lo, s5
	v_lshrrev_b32_e32 v2, 16, v2
	s_delay_alu instid0(VALU_DEP_1) | instskip(SKIP_4) | instid1(VALU_DEP_2)
	v_and_or_b32 v2, 0xffff0000, v10, v2
	global_atomic_cmpswap_b32 v2, v[0:1], v[2:3], off offset:96 glc
	s_waitcnt vmcnt(0)
	v_cmp_eq_u32_e64 s0, v2, v3
	v_mov_b32_e32 v3, v2
	s_or_b32 s1, s0, s1
	s_delay_alu instid0(SALU_CYCLE_1)
	s_and_not1_b32 exec_lo, exec_lo, s1
	s_cbranch_execz .LBB11_806
.LBB11_798:                             ; =>This Inner Loop Header: Depth=1
	s_waitcnt vmcnt(0)
	v_lshlrev_b32_e32 v2, 16, v3
	s_delay_alu instid0(VALU_DEP_1) | instskip(NEXT) | instid1(VALU_DEP_1)
	v_add_f32_e32 v9, v4, v2
	v_and_b32_e32 v2, 0x7f800000, v9
	s_delay_alu instid0(VALU_DEP_1) | instskip(NEXT) | instid1(VALU_DEP_1)
	v_cmp_ne_u32_e64 s0, 0x7f800000, v2
                                        ; implicit-def: $vgpr2
	s_and_saveexec_b32 s5, s0
	s_delay_alu instid0(SALU_CYCLE_1)
	s_xor_b32 s0, exec_lo, s5
; %bb.799:                              ;   in Loop: Header=BB11_798 Depth=1
	v_bfe_u32 v2, v9, 16, 1
	s_delay_alu instid0(VALU_DEP_1)
	v_add3_u32 v2, v9, v2, 0x7fff
                                        ; implicit-def: $vgpr9
; %bb.800:                              ;   in Loop: Header=BB11_798 Depth=1
	s_and_not1_saveexec_b32 s5, s0
; %bb.801:                              ;   in Loop: Header=BB11_798 Depth=1
	v_and_b32_e32 v2, 0xffff, v9
	v_or_b32_e32 v10, 0x10000, v9
	s_delay_alu instid0(VALU_DEP_2) | instskip(NEXT) | instid1(VALU_DEP_1)
	v_cmp_eq_u32_e64 s0, 0, v2
	v_cndmask_b32_e64 v2, v10, v9, s0
; %bb.802:                              ;   in Loop: Header=BB11_798 Depth=1
	s_or_b32 exec_lo, exec_lo, s5
	v_and_b32_e32 v9, 0xffff0000, v3
	s_delay_alu instid0(VALU_DEP_1) | instskip(NEXT) | instid1(VALU_DEP_1)
	v_add_f32_e32 v9, v5, v9
	v_and_b32_e32 v10, 0x7f800000, v9
	s_delay_alu instid0(VALU_DEP_1) | instskip(NEXT) | instid1(VALU_DEP_1)
	v_cmp_ne_u32_e64 s0, 0x7f800000, v10
                                        ; implicit-def: $vgpr10
	s_and_saveexec_b32 s5, s0
	s_delay_alu instid0(SALU_CYCLE_1)
	s_xor_b32 s0, exec_lo, s5
; %bb.803:                              ;   in Loop: Header=BB11_798 Depth=1
	v_bfe_u32 v10, v9, 16, 1
	s_delay_alu instid0(VALU_DEP_1)
	v_add3_u32 v10, v9, v10, 0x7fff
                                        ; implicit-def: $vgpr9
; %bb.804:                              ;   in Loop: Header=BB11_798 Depth=1
	s_and_not1_saveexec_b32 s5, s0
	s_cbranch_execz .LBB11_797
; %bb.805:                              ;   in Loop: Header=BB11_798 Depth=1
	v_and_b32_e32 v10, 0xffff, v9
	v_or_b32_e32 v13, 0x10000, v9
	s_delay_alu instid0(VALU_DEP_2) | instskip(NEXT) | instid1(VALU_DEP_1)
	v_cmp_eq_u32_e64 s0, 0, v10
	v_cndmask_b32_e64 v10, v13, v9, s0
	s_branch .LBB11_797
.LBB11_806:
	s_or_b32 exec_lo, exec_lo, s4
	s_waitcnt lgkmcnt(0)
	ds_bpermute_b32 v1, v12, v6
	s_and_saveexec_b32 s4, vcc_lo
	s_cbranch_execz .LBB11_826
; %bb.807:
	v_or3_b32 v0, v54, v55, 10
	v_cmp_gt_i32_e64 s1, s17, v11
	s_delay_alu instid0(VALU_DEP_2) | instskip(NEXT) | instid1(VALU_DEP_1)
	v_cmp_gt_i32_e64 s0, s16, v0
	s_and_b32 s0, s0, s1
	s_delay_alu instid0(SALU_CYCLE_1)
	s_and_b32 exec_lo, exec_lo, s0
	s_cbranch_execz .LBB11_826
; %bb.808:
	v_and_b32_e32 v2, 0x7f800000, v6
	s_delay_alu instid0(VALU_DEP_1) | instskip(NEXT) | instid1(VALU_DEP_1)
	v_cmp_ne_u32_e64 s0, 0x7f800000, v2
                                        ; implicit-def: $vgpr2
	s_and_saveexec_b32 s1, s0
	s_delay_alu instid0(SALU_CYCLE_1)
	s_xor_b32 s0, exec_lo, s1
; %bb.809:
	v_bfe_u32 v2, v6, 16, 1
	s_delay_alu instid0(VALU_DEP_1)
	v_add3_u32 v2, v6, v2, 0x7fff
; %bb.810:
	s_and_not1_saveexec_b32 s1, s0
; %bb.811:
	v_and_b32_e32 v2, 0xffff, v6
	v_or_b32_e32 v3, 0x10000, v6
	s_delay_alu instid0(VALU_DEP_2) | instskip(NEXT) | instid1(VALU_DEP_1)
	v_cmp_eq_u32_e64 s0, 0, v2
	v_cndmask_b32_e64 v2, v3, v6, s0
; %bb.812:
	s_or_b32 exec_lo, exec_lo, s1
	s_waitcnt lgkmcnt(0)
	v_and_b32_e32 v3, 0x7f800000, v1
                                        ; implicit-def: $vgpr5
	s_delay_alu instid0(VALU_DEP_1) | instskip(NEXT) | instid1(VALU_DEP_1)
	v_cmp_ne_u32_e64 s0, 0x7f800000, v3
	s_and_saveexec_b32 s1, s0
	s_delay_alu instid0(SALU_CYCLE_1)
	s_xor_b32 s0, exec_lo, s1
; %bb.813:
	v_bfe_u32 v3, v1, 16, 1
	s_delay_alu instid0(VALU_DEP_1)
	v_add3_u32 v5, v1, v3, 0x7fff
                                        ; implicit-def: $vgpr1
; %bb.814:
	s_and_not1_saveexec_b32 s1, s0
; %bb.815:
	v_and_b32_e32 v3, 0xffff, v1
	v_or_b32_e32 v4, 0x10000, v1
	s_delay_alu instid0(VALU_DEP_2) | instskip(NEXT) | instid1(VALU_DEP_1)
	v_cmp_eq_u32_e64 s0, 0, v3
	v_cndmask_b32_e64 v5, v4, v1, s0
; %bb.816:
	s_or_b32 exec_lo, exec_lo, s1
	v_mul_lo_u32 v0, v0, s17
	s_ashr_i32 s0, s14, 31
	v_add_co_u32 v3, s1, s14, v53
	s_delay_alu instid0(VALU_DEP_1) | instskip(SKIP_2) | instid1(VALU_DEP_4)
	v_add_co_ci_u32_e64 v4, null, s0, 0, s1
	v_and_b32_e32 v5, 0xffff0000, v5
	s_mov_b32 s1, 0
	v_ashrrev_i32_e32 v1, 31, v0
	s_delay_alu instid0(VALU_DEP_3) | instskip(NEXT) | instid1(VALU_DEP_2)
	v_lshlrev_b64 v[3:4], 1, v[3:4]
	v_lshlrev_b64 v[0:1], 1, v[0:1]
	s_delay_alu instid0(VALU_DEP_1) | instskip(NEXT) | instid1(VALU_DEP_1)
	v_add_co_u32 v0, s0, s2, v0
	v_add_co_ci_u32_e64 v1, s0, s3, v1, s0
	s_delay_alu instid0(VALU_DEP_2) | instskip(NEXT) | instid1(VALU_DEP_1)
	v_add_co_u32 v0, s0, v0, v3
	v_add_co_ci_u32_e64 v1, s0, v1, v4, s0
	v_and_b32_e32 v4, 0xffff0000, v2
	global_load_b32 v3, v[0:1], off offset:96
	s_branch .LBB11_818
.LBB11_817:                             ;   in Loop: Header=BB11_818 Depth=1
	s_or_b32 exec_lo, exec_lo, s5
	v_lshrrev_b32_e32 v2, 16, v2
	s_delay_alu instid0(VALU_DEP_1) | instskip(SKIP_4) | instid1(VALU_DEP_2)
	v_and_or_b32 v2, 0xffff0000, v9, v2
	global_atomic_cmpswap_b32 v2, v[0:1], v[2:3], off offset:96 glc
	s_waitcnt vmcnt(0)
	v_cmp_eq_u32_e64 s0, v2, v3
	v_mov_b32_e32 v3, v2
	s_or_b32 s1, s0, s1
	s_delay_alu instid0(SALU_CYCLE_1)
	s_and_not1_b32 exec_lo, exec_lo, s1
	s_cbranch_execz .LBB11_826
.LBB11_818:                             ; =>This Inner Loop Header: Depth=1
	s_waitcnt vmcnt(0)
	v_lshlrev_b32_e32 v2, 16, v3
	s_delay_alu instid0(VALU_DEP_1) | instskip(NEXT) | instid1(VALU_DEP_1)
	v_add_f32_e32 v6, v4, v2
	v_and_b32_e32 v2, 0x7f800000, v6
	s_delay_alu instid0(VALU_DEP_1) | instskip(NEXT) | instid1(VALU_DEP_1)
	v_cmp_ne_u32_e64 s0, 0x7f800000, v2
                                        ; implicit-def: $vgpr2
	s_and_saveexec_b32 s5, s0
	s_delay_alu instid0(SALU_CYCLE_1)
	s_xor_b32 s0, exec_lo, s5
; %bb.819:                              ;   in Loop: Header=BB11_818 Depth=1
	v_bfe_u32 v2, v6, 16, 1
	s_delay_alu instid0(VALU_DEP_1)
	v_add3_u32 v2, v6, v2, 0x7fff
                                        ; implicit-def: $vgpr6
; %bb.820:                              ;   in Loop: Header=BB11_818 Depth=1
	s_and_not1_saveexec_b32 s5, s0
; %bb.821:                              ;   in Loop: Header=BB11_818 Depth=1
	v_and_b32_e32 v2, 0xffff, v6
	v_or_b32_e32 v9, 0x10000, v6
	s_delay_alu instid0(VALU_DEP_2) | instskip(NEXT) | instid1(VALU_DEP_1)
	v_cmp_eq_u32_e64 s0, 0, v2
	v_cndmask_b32_e64 v2, v9, v6, s0
; %bb.822:                              ;   in Loop: Header=BB11_818 Depth=1
	s_or_b32 exec_lo, exec_lo, s5
	v_and_b32_e32 v6, 0xffff0000, v3
	s_delay_alu instid0(VALU_DEP_1) | instskip(NEXT) | instid1(VALU_DEP_1)
	v_add_f32_e32 v6, v5, v6
	v_and_b32_e32 v9, 0x7f800000, v6
	s_delay_alu instid0(VALU_DEP_1) | instskip(NEXT) | instid1(VALU_DEP_1)
	v_cmp_ne_u32_e64 s0, 0x7f800000, v9
                                        ; implicit-def: $vgpr9
	s_and_saveexec_b32 s5, s0
	s_delay_alu instid0(SALU_CYCLE_1)
	s_xor_b32 s0, exec_lo, s5
; %bb.823:                              ;   in Loop: Header=BB11_818 Depth=1
	v_bfe_u32 v9, v6, 16, 1
	s_delay_alu instid0(VALU_DEP_1)
	v_add3_u32 v9, v6, v9, 0x7fff
                                        ; implicit-def: $vgpr6
; %bb.824:                              ;   in Loop: Header=BB11_818 Depth=1
	s_and_not1_saveexec_b32 s5, s0
	s_cbranch_execz .LBB11_817
; %bb.825:                              ;   in Loop: Header=BB11_818 Depth=1
	v_and_b32_e32 v9, 0xffff, v6
	v_or_b32_e32 v10, 0x10000, v6
	s_delay_alu instid0(VALU_DEP_2) | instskip(NEXT) | instid1(VALU_DEP_1)
	v_cmp_eq_u32_e64 s0, 0, v9
	v_cndmask_b32_e64 v9, v10, v6, s0
	s_branch .LBB11_817
.LBB11_826:
	s_or_b32 exec_lo, exec_lo, s4
	s_waitcnt lgkmcnt(0)
	ds_bpermute_b32 v1, v12, v7
	s_and_saveexec_b32 s4, vcc_lo
	s_cbranch_execz .LBB11_846
; %bb.827:
	v_or3_b32 v0, v54, v55, 12
	v_cmp_gt_i32_e64 s1, s17, v11
	s_delay_alu instid0(VALU_DEP_2) | instskip(NEXT) | instid1(VALU_DEP_1)
	v_cmp_gt_i32_e64 s0, s16, v0
	s_and_b32 s0, s0, s1
	s_delay_alu instid0(SALU_CYCLE_1)
	s_and_b32 exec_lo, exec_lo, s0
	s_cbranch_execz .LBB11_846
; %bb.828:
	v_and_b32_e32 v2, 0x7f800000, v7
	s_delay_alu instid0(VALU_DEP_1) | instskip(NEXT) | instid1(VALU_DEP_1)
	v_cmp_ne_u32_e64 s0, 0x7f800000, v2
                                        ; implicit-def: $vgpr2
	s_and_saveexec_b32 s1, s0
	s_delay_alu instid0(SALU_CYCLE_1)
	s_xor_b32 s0, exec_lo, s1
; %bb.829:
	v_bfe_u32 v2, v7, 16, 1
	s_delay_alu instid0(VALU_DEP_1)
	v_add3_u32 v2, v7, v2, 0x7fff
; %bb.830:
	s_and_not1_saveexec_b32 s1, s0
; %bb.831:
	v_and_b32_e32 v2, 0xffff, v7
	v_or_b32_e32 v3, 0x10000, v7
	s_delay_alu instid0(VALU_DEP_2) | instskip(NEXT) | instid1(VALU_DEP_1)
	v_cmp_eq_u32_e64 s0, 0, v2
	v_cndmask_b32_e64 v2, v3, v7, s0
; %bb.832:
	s_or_b32 exec_lo, exec_lo, s1
	s_waitcnt lgkmcnt(0)
	v_and_b32_e32 v3, 0x7f800000, v1
                                        ; implicit-def: $vgpr5
	s_delay_alu instid0(VALU_DEP_1) | instskip(NEXT) | instid1(VALU_DEP_1)
	v_cmp_ne_u32_e64 s0, 0x7f800000, v3
	s_and_saveexec_b32 s1, s0
	s_delay_alu instid0(SALU_CYCLE_1)
	s_xor_b32 s0, exec_lo, s1
; %bb.833:
	v_bfe_u32 v3, v1, 16, 1
	s_delay_alu instid0(VALU_DEP_1)
	v_add3_u32 v5, v1, v3, 0x7fff
                                        ; implicit-def: $vgpr1
; %bb.834:
	s_and_not1_saveexec_b32 s1, s0
; %bb.835:
	v_and_b32_e32 v3, 0xffff, v1
	v_or_b32_e32 v4, 0x10000, v1
	s_delay_alu instid0(VALU_DEP_2) | instskip(NEXT) | instid1(VALU_DEP_1)
	v_cmp_eq_u32_e64 s0, 0, v3
	v_cndmask_b32_e64 v5, v4, v1, s0
; %bb.836:
	s_or_b32 exec_lo, exec_lo, s1
	v_mul_lo_u32 v0, v0, s17
	s_ashr_i32 s0, s14, 31
	v_add_co_u32 v3, s1, s14, v53
	s_delay_alu instid0(VALU_DEP_1) | instskip(SKIP_2) | instid1(VALU_DEP_4)
	v_add_co_ci_u32_e64 v4, null, s0, 0, s1
	v_and_b32_e32 v5, 0xffff0000, v5
	s_mov_b32 s1, 0
	v_ashrrev_i32_e32 v1, 31, v0
	s_delay_alu instid0(VALU_DEP_3) | instskip(NEXT) | instid1(VALU_DEP_2)
	v_lshlrev_b64 v[3:4], 1, v[3:4]
	v_lshlrev_b64 v[0:1], 1, v[0:1]
	s_delay_alu instid0(VALU_DEP_1) | instskip(NEXT) | instid1(VALU_DEP_1)
	v_add_co_u32 v0, s0, s2, v0
	v_add_co_ci_u32_e64 v1, s0, s3, v1, s0
	s_delay_alu instid0(VALU_DEP_2) | instskip(NEXT) | instid1(VALU_DEP_1)
	v_add_co_u32 v0, s0, v0, v3
	v_add_co_ci_u32_e64 v1, s0, v1, v4, s0
	v_and_b32_e32 v4, 0xffff0000, v2
	global_load_b32 v3, v[0:1], off offset:96
	s_branch .LBB11_838
.LBB11_837:                             ;   in Loop: Header=BB11_838 Depth=1
	s_or_b32 exec_lo, exec_lo, s5
	v_lshrrev_b32_e32 v2, 16, v2
	s_delay_alu instid0(VALU_DEP_1) | instskip(SKIP_4) | instid1(VALU_DEP_2)
	v_and_or_b32 v2, 0xffff0000, v7, v2
	global_atomic_cmpswap_b32 v2, v[0:1], v[2:3], off offset:96 glc
	s_waitcnt vmcnt(0)
	v_cmp_eq_u32_e64 s0, v2, v3
	v_mov_b32_e32 v3, v2
	s_or_b32 s1, s0, s1
	s_delay_alu instid0(SALU_CYCLE_1)
	s_and_not1_b32 exec_lo, exec_lo, s1
	s_cbranch_execz .LBB11_846
.LBB11_838:                             ; =>This Inner Loop Header: Depth=1
	s_waitcnt vmcnt(0)
	v_lshlrev_b32_e32 v2, 16, v3
	s_delay_alu instid0(VALU_DEP_1) | instskip(NEXT) | instid1(VALU_DEP_1)
	v_add_f32_e32 v6, v4, v2
	v_and_b32_e32 v2, 0x7f800000, v6
	s_delay_alu instid0(VALU_DEP_1) | instskip(NEXT) | instid1(VALU_DEP_1)
	v_cmp_ne_u32_e64 s0, 0x7f800000, v2
                                        ; implicit-def: $vgpr2
	s_and_saveexec_b32 s5, s0
	s_delay_alu instid0(SALU_CYCLE_1)
	s_xor_b32 s0, exec_lo, s5
; %bb.839:                              ;   in Loop: Header=BB11_838 Depth=1
	v_bfe_u32 v2, v6, 16, 1
	s_delay_alu instid0(VALU_DEP_1)
	v_add3_u32 v2, v6, v2, 0x7fff
                                        ; implicit-def: $vgpr6
; %bb.840:                              ;   in Loop: Header=BB11_838 Depth=1
	s_and_not1_saveexec_b32 s5, s0
; %bb.841:                              ;   in Loop: Header=BB11_838 Depth=1
	v_and_b32_e32 v2, 0xffff, v6
	v_or_b32_e32 v7, 0x10000, v6
	s_delay_alu instid0(VALU_DEP_2) | instskip(NEXT) | instid1(VALU_DEP_1)
	v_cmp_eq_u32_e64 s0, 0, v2
	v_cndmask_b32_e64 v2, v7, v6, s0
; %bb.842:                              ;   in Loop: Header=BB11_838 Depth=1
	s_or_b32 exec_lo, exec_lo, s5
	v_and_b32_e32 v6, 0xffff0000, v3
	s_delay_alu instid0(VALU_DEP_1) | instskip(NEXT) | instid1(VALU_DEP_1)
	v_add_f32_e32 v6, v5, v6
	v_and_b32_e32 v7, 0x7f800000, v6
	s_delay_alu instid0(VALU_DEP_1) | instskip(NEXT) | instid1(VALU_DEP_1)
	v_cmp_ne_u32_e64 s0, 0x7f800000, v7
                                        ; implicit-def: $vgpr7
	s_and_saveexec_b32 s5, s0
	s_delay_alu instid0(SALU_CYCLE_1)
	s_xor_b32 s0, exec_lo, s5
; %bb.843:                              ;   in Loop: Header=BB11_838 Depth=1
	v_bfe_u32 v7, v6, 16, 1
	s_delay_alu instid0(VALU_DEP_1)
	v_add3_u32 v7, v6, v7, 0x7fff
                                        ; implicit-def: $vgpr6
; %bb.844:                              ;   in Loop: Header=BB11_838 Depth=1
	s_and_not1_saveexec_b32 s5, s0
	s_cbranch_execz .LBB11_837
; %bb.845:                              ;   in Loop: Header=BB11_838 Depth=1
	v_and_b32_e32 v7, 0xffff, v6
	v_or_b32_e32 v9, 0x10000, v6
	s_delay_alu instid0(VALU_DEP_2) | instskip(NEXT) | instid1(VALU_DEP_1)
	v_cmp_eq_u32_e64 s0, 0, v7
	v_cndmask_b32_e64 v7, v9, v6, s0
	s_branch .LBB11_837
.LBB11_846:
	s_or_b32 exec_lo, exec_lo, s4
	ds_bpermute_b32 v10, v12, v8
	s_and_saveexec_b32 s0, vcc_lo
	s_cbranch_execz .LBB11_866
; %bb.847:
	v_or3_b32 v0, v54, v55, 14
	v_cmp_gt_i32_e64 s0, s17, v11
	s_delay_alu instid0(VALU_DEP_2) | instskip(NEXT) | instid1(VALU_DEP_2)
	v_cmp_gt_i32_e32 vcc_lo, s16, v0
	s_and_b32 s0, vcc_lo, s0
	s_delay_alu instid0(SALU_CYCLE_1)
	s_and_b32 exec_lo, exec_lo, s0
	s_cbranch_execz .LBB11_866
; %bb.848:
	s_waitcnt lgkmcnt(1)
	v_and_b32_e32 v1, 0x7f800000, v8
	s_mov_b32 s0, exec_lo
                                        ; implicit-def: $vgpr9
	s_delay_alu instid0(VALU_DEP_1)
	v_cmpx_ne_u32_e32 0x7f800000, v1
	s_xor_b32 s0, exec_lo, s0
; %bb.849:
	v_bfe_u32 v1, v8, 16, 1
	s_delay_alu instid0(VALU_DEP_1)
	v_add3_u32 v9, v8, v1, 0x7fff
                                        ; implicit-def: $vgpr1_vgpr2_vgpr3_vgpr4_vgpr5_vgpr6_vgpr7_vgpr8
; %bb.850:
	s_and_not1_saveexec_b32 s0, s0
; %bb.851:
	v_and_b32_e32 v1, 0xffff, v8
	v_or_b32_e32 v2, 0x10000, v8
	s_delay_alu instid0(VALU_DEP_2) | instskip(NEXT) | instid1(VALU_DEP_2)
	v_cmp_eq_u32_e32 vcc_lo, 0, v1
	v_cndmask_b32_e32 v9, v2, v8, vcc_lo
; %bb.852:
	s_or_b32 exec_lo, exec_lo, s0
	s_waitcnt lgkmcnt(0)
	v_and_b32_e32 v1, 0x7f800000, v10
	s_mov_b32 s0, exec_lo
                                        ; implicit-def: $vgpr2
	s_delay_alu instid0(VALU_DEP_1)
	v_cmpx_ne_u32_e32 0x7f800000, v1
	s_xor_b32 s0, exec_lo, s0
; %bb.853:
	v_bfe_u32 v1, v10, 16, 1
	s_delay_alu instid0(VALU_DEP_1)
	v_add3_u32 v2, v10, v1, 0x7fff
                                        ; implicit-def: $vgpr10
; %bb.854:
	s_and_not1_saveexec_b32 s0, s0
; %bb.855:
	v_and_b32_e32 v1, 0xffff, v10
	v_or_b32_e32 v2, 0x10000, v10
	s_delay_alu instid0(VALU_DEP_2) | instskip(NEXT) | instid1(VALU_DEP_2)
	v_cmp_eq_u32_e32 vcc_lo, 0, v1
	v_cndmask_b32_e32 v2, v2, v10, vcc_lo
; %bb.856:
	s_or_b32 exec_lo, exec_lo, s0
	v_mul_lo_u32 v0, v0, s17
	s_ashr_i32 s0, s14, 31
	v_add_co_u32 v3, s1, s14, v53
	s_delay_alu instid0(VALU_DEP_1) | instskip(SKIP_2) | instid1(VALU_DEP_4)
	v_add_co_ci_u32_e64 v4, null, s0, 0, s1
	v_and_b32_e32 v5, 0xffff0000, v2
	s_mov_b32 s0, 0
	v_ashrrev_i32_e32 v1, 31, v0
	s_delay_alu instid0(VALU_DEP_3) | instskip(NEXT) | instid1(VALU_DEP_2)
	v_lshlrev_b64 v[3:4], 1, v[3:4]
	v_lshlrev_b64 v[0:1], 1, v[0:1]
	s_delay_alu instid0(VALU_DEP_1) | instskip(NEXT) | instid1(VALU_DEP_2)
	v_add_co_u32 v0, vcc_lo, s2, v0
	v_add_co_ci_u32_e32 v1, vcc_lo, s3, v1, vcc_lo
	s_delay_alu instid0(VALU_DEP_2) | instskip(NEXT) | instid1(VALU_DEP_2)
	v_add_co_u32 v0, vcc_lo, v0, v3
	v_add_co_ci_u32_e32 v1, vcc_lo, v1, v4, vcc_lo
	v_and_b32_e32 v4, 0xffff0000, v9
	global_load_b32 v3, v[0:1], off offset:96
	s_branch .LBB11_858
.LBB11_857:                             ;   in Loop: Header=BB11_858 Depth=1
	s_or_b32 exec_lo, exec_lo, s1
	v_lshrrev_b32_e32 v2, 16, v2
	s_delay_alu instid0(VALU_DEP_1)
	v_and_or_b32 v2, 0xffff0000, v7, v2
	global_atomic_cmpswap_b32 v2, v[0:1], v[2:3], off offset:96 glc
	s_waitcnt vmcnt(0)
	v_cmp_eq_u32_e32 vcc_lo, v2, v3
	v_mov_b32_e32 v3, v2
	s_or_b32 s0, vcc_lo, s0
	s_delay_alu instid0(SALU_CYCLE_1)
	s_and_not1_b32 exec_lo, exec_lo, s0
	s_cbranch_execz .LBB11_866
.LBB11_858:                             ; =>This Inner Loop Header: Depth=1
	s_waitcnt vmcnt(0)
	v_lshlrev_b32_e32 v2, 16, v3
	s_delay_alu instid0(VALU_DEP_1) | instskip(NEXT) | instid1(VALU_DEP_1)
	v_add_f32_e32 v6, v4, v2
	v_and_b32_e32 v2, 0x7f800000, v6
	s_delay_alu instid0(VALU_DEP_1) | instskip(SKIP_1) | instid1(SALU_CYCLE_1)
	v_cmp_ne_u32_e32 vcc_lo, 0x7f800000, v2
                                        ; implicit-def: $vgpr2
	s_and_saveexec_b32 s1, vcc_lo
	s_xor_b32 s1, exec_lo, s1
; %bb.859:                              ;   in Loop: Header=BB11_858 Depth=1
	v_bfe_u32 v2, v6, 16, 1
	s_delay_alu instid0(VALU_DEP_1)
	v_add3_u32 v2, v6, v2, 0x7fff
                                        ; implicit-def: $vgpr6
; %bb.860:                              ;   in Loop: Header=BB11_858 Depth=1
	s_and_not1_saveexec_b32 s1, s1
; %bb.861:                              ;   in Loop: Header=BB11_858 Depth=1
	v_and_b32_e32 v2, 0xffff, v6
	v_or_b32_e32 v7, 0x10000, v6
	s_delay_alu instid0(VALU_DEP_2) | instskip(NEXT) | instid1(VALU_DEP_2)
	v_cmp_eq_u32_e32 vcc_lo, 0, v2
	v_cndmask_b32_e32 v2, v7, v6, vcc_lo
; %bb.862:                              ;   in Loop: Header=BB11_858 Depth=1
	s_or_b32 exec_lo, exec_lo, s1
	v_and_b32_e32 v6, 0xffff0000, v3
	s_delay_alu instid0(VALU_DEP_1) | instskip(NEXT) | instid1(VALU_DEP_1)
	v_add_f32_e32 v6, v5, v6
	v_and_b32_e32 v7, 0x7f800000, v6
	s_delay_alu instid0(VALU_DEP_1) | instskip(SKIP_1) | instid1(SALU_CYCLE_1)
	v_cmp_ne_u32_e32 vcc_lo, 0x7f800000, v7
                                        ; implicit-def: $vgpr7
	s_and_saveexec_b32 s1, vcc_lo
	s_xor_b32 s1, exec_lo, s1
; %bb.863:                              ;   in Loop: Header=BB11_858 Depth=1
	v_bfe_u32 v7, v6, 16, 1
	s_delay_alu instid0(VALU_DEP_1)
	v_add3_u32 v7, v6, v7, 0x7fff
                                        ; implicit-def: $vgpr6
; %bb.864:                              ;   in Loop: Header=BB11_858 Depth=1
	s_and_not1_saveexec_b32 s1, s1
	s_cbranch_execz .LBB11_857
; %bb.865:                              ;   in Loop: Header=BB11_858 Depth=1
	v_and_b32_e32 v7, 0xffff, v6
	v_or_b32_e32 v8, 0x10000, v6
	s_delay_alu instid0(VALU_DEP_2) | instskip(NEXT) | instid1(VALU_DEP_2)
	v_cmp_eq_u32_e32 vcc_lo, 0, v7
	v_cndmask_b32_e32 v7, v8, v6, vcc_lo
	s_branch .LBB11_857
.LBB11_866:
	s_nop 0
	s_sendmsg sendmsg(MSG_DEALLOC_VGPRS)
	s_endpgm
	.section	.rodata,"a",@progbits
	.p2align	6, 0x0
	.amdhsa_kernel _ZN4vllm15gptq_rdna3_wmma30gemm_q4_wmma_kernel_128x64_k32I14__hip_bfloat16EEvPKT_PKjS7_S5_PS3_iiiiiPKi
		.amdhsa_group_segment_fixed_size 8704
		.amdhsa_private_segment_fixed_size 0
		.amdhsa_kernarg_size 328
		.amdhsa_user_sgpr_count 13
		.amdhsa_user_sgpr_dispatch_ptr 0
		.amdhsa_user_sgpr_queue_ptr 0
		.amdhsa_user_sgpr_kernarg_segment_ptr 1
		.amdhsa_user_sgpr_dispatch_id 0
		.amdhsa_user_sgpr_private_segment_size 0
		.amdhsa_wavefront_size32 1
		.amdhsa_uses_dynamic_stack 0
		.amdhsa_enable_private_segment 0
		.amdhsa_system_sgpr_workgroup_id_x 1
		.amdhsa_system_sgpr_workgroup_id_y 1
		.amdhsa_system_sgpr_workgroup_id_z 1
		.amdhsa_system_sgpr_workgroup_info 0
		.amdhsa_system_vgpr_workitem_id 0
		.amdhsa_next_free_vgpr 127
		.amdhsa_next_free_sgpr 29
		.amdhsa_reserve_vcc 1
		.amdhsa_float_round_mode_32 0
		.amdhsa_float_round_mode_16_64 0
		.amdhsa_float_denorm_mode_32 3
		.amdhsa_float_denorm_mode_16_64 3
		.amdhsa_dx10_clamp 1
		.amdhsa_ieee_mode 1
		.amdhsa_fp16_overflow 0
		.amdhsa_workgroup_processor_mode 1
		.amdhsa_memory_ordered 1
		.amdhsa_forward_progress 0
		.amdhsa_shared_vgpr_count 0
		.amdhsa_exception_fp_ieee_invalid_op 0
		.amdhsa_exception_fp_denorm_src 0
		.amdhsa_exception_fp_ieee_div_zero 0
		.amdhsa_exception_fp_ieee_overflow 0
		.amdhsa_exception_fp_ieee_underflow 0
		.amdhsa_exception_fp_ieee_inexact 0
		.amdhsa_exception_int_div_zero 0
	.end_amdhsa_kernel
	.section	.text._ZN4vllm15gptq_rdna3_wmma30gemm_q4_wmma_kernel_128x64_k32I14__hip_bfloat16EEvPKT_PKjS7_S5_PS3_iiiiiPKi,"axG",@progbits,_ZN4vllm15gptq_rdna3_wmma30gemm_q4_wmma_kernel_128x64_k32I14__hip_bfloat16EEvPKT_PKjS7_S5_PS3_iiiiiPKi,comdat
.Lfunc_end11:
	.size	_ZN4vllm15gptq_rdna3_wmma30gemm_q4_wmma_kernel_128x64_k32I14__hip_bfloat16EEvPKT_PKjS7_S5_PS3_iiiiiPKi, .Lfunc_end11-_ZN4vllm15gptq_rdna3_wmma30gemm_q4_wmma_kernel_128x64_k32I14__hip_bfloat16EEvPKT_PKjS7_S5_PS3_iiiiiPKi
                                        ; -- End function
	.section	.AMDGPU.csdata,"",@progbits
; Kernel info:
; codeLenInByte = 32896
; NumSgprs: 31
; NumVgprs: 127
; ScratchSize: 0
; MemoryBound: 1
; FloatMode: 240
; IeeeMode: 1
; LDSByteSize: 8704 bytes/workgroup (compile time only)
; SGPRBlocks: 3
; VGPRBlocks: 15
; NumSGPRsForWavesPerEU: 31
; NumVGPRsForWavesPerEU: 127
; Occupancy: 10
; WaveLimiterHint : 0
; COMPUTE_PGM_RSRC2:SCRATCH_EN: 0
; COMPUTE_PGM_RSRC2:USER_SGPR: 13
; COMPUTE_PGM_RSRC2:TRAP_HANDLER: 0
; COMPUTE_PGM_RSRC2:TGID_X_EN: 1
; COMPUTE_PGM_RSRC2:TGID_Y_EN: 1
; COMPUTE_PGM_RSRC2:TGID_Z_EN: 1
; COMPUTE_PGM_RSRC2:TIDIG_COMP_CNT: 0
	.section	.text._ZN4vllm15gptq_rdna3_wmma30gemm_q4_wmma_kernel_128x64_k16I14__hip_bfloat16EEvPKT_PKjS7_S5_PS3_iiiiiPKi,"axG",@progbits,_ZN4vllm15gptq_rdna3_wmma30gemm_q4_wmma_kernel_128x64_k16I14__hip_bfloat16EEvPKT_PKjS7_S5_PS3_iiiiiPKi,comdat
	.protected	_ZN4vllm15gptq_rdna3_wmma30gemm_q4_wmma_kernel_128x64_k16I14__hip_bfloat16EEvPKT_PKjS7_S5_PS3_iiiiiPKi ; -- Begin function _ZN4vllm15gptq_rdna3_wmma30gemm_q4_wmma_kernel_128x64_k16I14__hip_bfloat16EEvPKT_PKjS7_S5_PS3_iiiiiPKi
	.globl	_ZN4vllm15gptq_rdna3_wmma30gemm_q4_wmma_kernel_128x64_k16I14__hip_bfloat16EEvPKT_PKjS7_S5_PS3_iiiiiPKi
	.p2align	8
	.type	_ZN4vllm15gptq_rdna3_wmma30gemm_q4_wmma_kernel_128x64_k16I14__hip_bfloat16EEvPKT_PKjS7_S5_PS3_iiiiiPKi,@function
_ZN4vllm15gptq_rdna3_wmma30gemm_q4_wmma_kernel_128x64_k16I14__hip_bfloat16EEvPKT_PKjS7_S5_PS3_iiiiiPKi: ; @_ZN4vllm15gptq_rdna3_wmma30gemm_q4_wmma_kernel_128x64_k16I14__hip_bfloat16EEvPKT_PKjS7_S5_PS3_iiiiiPKi
; %bb.0:
	s_load_b128 s[16:19], s[0:1], 0x28
	s_lshl_b32 s22, s14, 7
	s_lshl_b32 s14, s13, 6
	s_waitcnt lgkmcnt(0)
	s_cmp_ge_i32 s22, s16
	s_cselect_b32 s2, -1, 0
	s_cmp_ge_i32 s14, s17
	s_cselect_b32 s3, -1, 0
	s_delay_alu instid0(SALU_CYCLE_1) | instskip(NEXT) | instid1(SALU_CYCLE_1)
	s_or_b32 s2, s2, s3
	s_and_b32 vcc_lo, exec_lo, s2
	s_cbranch_vccnz .LBB12_866
; %bb.1:
	s_load_b32 s20, s[0:1], 0x50
	s_abs_i32 s12, s19
	s_clause 0x2
	s_load_b64 s[2:3], s[0:1], 0x20
	s_load_b32 s21, s[0:1], 0x38
	s_load_b256 s[4:11], s[0:1], 0x0
	v_cvt_f32_u32_e32 v1, s12
	s_xor_b32 s0, s18, s19
	s_sub_i32 s19, 0, s12
	s_abs_i32 s1, s18
	s_ashr_i32 s0, s0, 31
	v_rcp_iflag_f32_e32 v1, v1
	v_dual_mov_b32 v50, 0 :: v_dual_and_b32 v45, 15, v0
	v_bfe_u32 v46, v0, 4, 1
	v_cmp_lt_u32_e32 vcc_lo, 0x7f, v0
	s_delay_alu instid0(VALU_DEP_2) | instskip(SKIP_2) | instid1(VALU_DEP_1)
	v_dual_mov_b32 v49, 0 :: v_dual_lshlrev_b32 v48, 3, v46
	s_waitcnt lgkmcnt(0)
	v_cvt_f32_u32_e32 v2, s20
	v_rcp_iflag_f32_e32 v2, v2
	s_waitcnt_depctr 0xfff
	v_dual_mul_f32 v1, 0x4f7ffffe, v1 :: v_dual_mul_f32 v2, 0x4f7ffffe, v2
	s_delay_alu instid0(VALU_DEP_1) | instskip(NEXT) | instid1(VALU_DEP_2)
	v_cvt_u32_f32_e32 v1, v1
	v_cvt_u32_f32_e32 v2, v2
	s_delay_alu instid0(VALU_DEP_2) | instskip(SKIP_1) | instid1(VALU_DEP_3)
	v_readfirstlane_b32 s13, v1
	v_lshrrev_b32_e32 v1, 1, v0
	v_readfirstlane_b32 s24, v2
	s_delay_alu instid0(VALU_DEP_3) | instskip(NEXT) | instid1(VALU_DEP_2)
	s_mul_i32 s19, s19, s13
	v_and_b32_e32 v1, 0x1f0, v1
	s_mul_hi_u32 s19, s13, s19
	v_mov_b32_e32 v51, -1
	s_add_i32 s13, s13, s19
	s_delay_alu instid0(VALU_DEP_2) | instskip(SKIP_3) | instid1(SALU_CYCLE_1)
	v_add_nc_u32_e32 v2, s14, v1
	s_mul_hi_u32 s13, s1, s13
	v_or_b32_e32 v33, v1, v45
	s_mul_i32 s19, s13, s12
	s_sub_i32 s1, s1, s19
	s_add_i32 s19, s13, 1
	s_sub_i32 s23, s1, s12
	s_cmp_ge_u32 s1, s12
	v_or_b32_e32 v2, v2, v45
	s_cselect_b32 s13, s19, s13
	s_cselect_b32 s1, s23, s1
	s_add_i32 s19, s13, 1
	s_cmp_ge_u32 s1, s12
	v_add_nc_u32_e32 v41, s14, v33
	s_cselect_b32 s1, s19, s13
	s_sub_i32 s12, 0, s20
	s_xor_b32 s1, s1, s0
	s_mul_i32 s12, s12, s24
	s_sub_i32 s13, s1, s0
	s_mul_hi_u32 s12, s24, s12
	v_cmp_le_i32_e64 s0, s17, v2
	s_add_i32 s24, s24, s12
	s_delay_alu instid0(SALU_CYCLE_1) | instskip(NEXT) | instid1(SALU_CYCLE_1)
	s_mul_hi_u32 s12, s18, s24
	s_mul_i32 s19, s12, s20
	s_delay_alu instid0(SALU_CYCLE_1)
	s_sub_i32 s1, s18, s19
	s_add_i32 s19, s12, 1
	s_sub_i32 s23, s1, s20
	s_cmp_ge_u32 s1, s20
	s_cselect_b32 s12, s19, s12
	s_cselect_b32 s1, s23, s1
	s_add_i32 s19, s12, 1
	s_cmp_ge_u32 s1, s20
	s_cselect_b32 s19, s19, s12
	s_or_b32 s0, vcc_lo, s0
	s_mul_i32 s12, s19, s15
	s_xor_b32 s1, s0, -1
	s_delay_alu instid0(SALU_CYCLE_1)
	s_and_saveexec_b32 s0, s1
	s_cbranch_execz .LBB12_5
; %bb.2:
	s_abs_i32 s15, s13
	s_abs_i32 s25, s12
	v_cvt_f32_u32_e32 v2, s15
	s_sub_i32 s24, 0, s15
	v_dual_mov_b32 v50, 0 :: v_dual_mov_b32 v49, 0
	s_delay_alu instid0(VALU_DEP_2) | instskip(SKIP_2) | instid1(VALU_DEP_1)
	v_rcp_iflag_f32_e32 v2, v2
	s_waitcnt_depctr 0xfff
	v_mul_f32_e32 v2, 0x4f7ffffe, v2
	v_cvt_u32_f32_e32 v2, v2
	s_delay_alu instid0(VALU_DEP_1) | instskip(NEXT) | instid1(VALU_DEP_1)
	v_readfirstlane_b32 s23, v2
	s_mul_i32 s24, s24, s23
	s_delay_alu instid0(SALU_CYCLE_1) | instskip(NEXT) | instid1(SALU_CYCLE_1)
	s_mul_hi_u32 s24, s23, s24
	s_add_i32 s23, s23, s24
	s_xor_b32 s24, s12, s13
	s_mul_hi_u32 s23, s25, s23
	s_ashr_i32 s24, s24, 31
	s_mul_i32 s26, s23, s15
	s_delay_alu instid0(SALU_CYCLE_1)
	s_sub_i32 s25, s25, s26
	s_add_i32 s26, s23, 1
	s_sub_i32 s27, s25, s15
	s_cmp_ge_u32 s25, s15
	s_cselect_b32 s23, s26, s23
	s_cselect_b32 s25, s27, s25
	s_add_i32 s26, s23, 1
	s_cmp_ge_u32 s25, s15
	s_cselect_b32 s15, s26, s23
	s_delay_alu instid0(SALU_CYCLE_1) | instskip(NEXT) | instid1(SALU_CYCLE_1)
	s_xor_b32 s15, s15, s24
	s_sub_i32 s15, s15, s24
	s_delay_alu instid0(SALU_CYCLE_1)
	s_cmp_eq_u32 s15, -1
	s_cbranch_scc1 .LBB12_4
; %bb.3:
	v_ashrrev_i32_e32 v2, 31, v41
	s_ashr_i32 s23, s17, 31
	s_delay_alu instid0(SALU_CYCLE_1) | instskip(NEXT) | instid1(SALU_CYCLE_1)
	s_lshr_b32 s23, s23, 29
	s_add_i32 s23, s17, s23
	s_delay_alu instid0(VALU_DEP_1) | instskip(SKIP_1) | instid1(VALU_DEP_1)
	v_lshrrev_b32_e32 v2, 29, v2
	s_ashr_i32 s23, s23, 3
	v_add_nc_u32_e32 v2, v41, v2
	s_delay_alu instid0(VALU_DEP_1) | instskip(NEXT) | instid1(VALU_DEP_1)
	v_ashrrev_i32_e32 v2, 3, v2
	v_mad_u64_u32 v[3:4], null, s15, s23, v[2:3]
	s_delay_alu instid0(VALU_DEP_1) | instskip(NEXT) | instid1(VALU_DEP_1)
	v_ashrrev_i32_e32 v4, 31, v3
	v_lshlrev_b64 v[2:3], 2, v[3:4]
	v_mad_u64_u32 v[4:5], null, s15, s17, v[41:42]
	s_delay_alu instid0(VALU_DEP_2) | instskip(NEXT) | instid1(VALU_DEP_3)
	v_add_co_u32 v2, vcc_lo, s8, v2
	v_add_co_ci_u32_e32 v3, vcc_lo, s9, v3, vcc_lo
	s_delay_alu instid0(VALU_DEP_3) | instskip(SKIP_2) | instid1(VALU_DEP_1)
	v_ashrrev_i32_e32 v5, 31, v4
	global_load_b32 v6, v[2:3], off
	v_lshlrev_b64 v[2:3], 1, v[4:5]
	v_add_co_u32 v2, vcc_lo, s10, v2
	s_delay_alu instid0(VALU_DEP_2) | instskip(SKIP_2) | instid1(VALU_DEP_1)
	v_add_co_ci_u32_e32 v3, vcc_lo, s11, v3, vcc_lo
	global_load_u16 v2, v[2:3], off
	v_lshlrev_b32_e32 v3, 2, v0
	v_and_b32_e32 v3, 28, v3
	s_waitcnt vmcnt(1)
	s_delay_alu instid0(VALU_DEP_1) | instskip(NEXT) | instid1(VALU_DEP_1)
	v_bfe_u32 v3, v6, v3, 4
	v_add_nc_u32_e32 v3, s21, v3
	s_delay_alu instid0(VALU_DEP_1) | instskip(SKIP_2) | instid1(VALU_DEP_2)
	v_cvt_f32_u32_e32 v3, v3
	s_waitcnt vmcnt(0)
	v_lshlrev_b32_e32 v50, 16, v2
	v_add_f32_e32 v2, 0x43000000, v3
	s_delay_alu instid0(VALU_DEP_1)
	v_mul_f32_e64 v49, v50, -v2
.LBB12_4:
	s_ashr_i32 s23, s12, 31
	v_lshlrev_b32_e32 v6, 1, v48
	s_lshr_b32 s23, s23, 29
	v_mov_b32_e32 v51, s15
	s_add_i32 s23, s12, s23
	s_delay_alu instid0(SALU_CYCLE_1) | instskip(SKIP_3) | instid1(VALU_DEP_1)
	s_ashr_i32 s23, s23, 3
	v_lshl_or_b32 v6, v33, 5, v6
	v_add_nc_u32_e32 v4, s23, v46
	s_mov_b32 s23, 0xf000f
	v_mad_u64_u32 v[2:3], null, v4, s17, v[41:42]
	s_delay_alu instid0(VALU_DEP_1) | instskip(NEXT) | instid1(VALU_DEP_1)
	v_ashrrev_i32_e32 v3, 31, v2
	v_lshlrev_b64 v[2:3], 2, v[2:3]
	s_delay_alu instid0(VALU_DEP_1) | instskip(NEXT) | instid1(VALU_DEP_2)
	v_add_co_u32 v2, vcc_lo, s6, v2
	v_add_co_ci_u32_e32 v3, vcc_lo, s7, v3, vcc_lo
	global_load_b32 v2, v[2:3], off
	s_waitcnt vmcnt(0)
	v_lshrrev_b32_e32 v3, 4, v2
	v_lshrrev_b32_e32 v4, 8, v2
	;; [unrolled: 1-line block ×3, first 2 shown]
	v_and_or_b32 v2, v2, s23, 0x43004300
	s_delay_alu instid0(VALU_DEP_4) | instskip(NEXT) | instid1(VALU_DEP_4)
	v_and_or_b32 v3, v3, s23, 0x43004300
	v_and_or_b32 v4, v4, s23, 0x43004300
	s_delay_alu instid0(VALU_DEP_4) | instskip(NEXT) | instid1(VALU_DEP_4)
	v_and_or_b32 v5, v5, s23, 0x43004300
	v_and_b32_e32 v7, 0x430f0000, v2
	v_lshlrev_b32_e32 v2, 16, v2
	v_lshlrev_b32_e32 v8, 16, v3
	v_and_b32_e32 v3, 0x430f0000, v3
	v_lshlrev_b32_e32 v9, 16, v4
	v_fma_f32 v7, v7, v50, v49
	v_fma_f32 v2, v2, v50, v49
	v_and_b32_e32 v4, 0x430f0000, v4
	v_lshlrev_b32_e32 v10, 16, v5
	v_and_b32_e32 v5, 0x430f0000, v5
	v_bfe_u32 v11, v7, 16, 1
	v_bfe_u32 v12, v2, 16, 1
	v_fma_f32 v8, v8, v50, v49
	v_fma_f32 v3, v3, v50, v49
	;; [unrolled: 1-line block ×6, first 2 shown]
	v_add3_u32 v2, v2, v12, 0x7fff
	v_add3_u32 v7, v7, v11, 0x7fff
	v_bfe_u32 v11, v3, 16, 1
	v_bfe_u32 v12, v8, 16, 1
	;; [unrolled: 1-line block ×6, first 2 shown]
	v_add3_u32 v8, v8, v12, 0x7fff
	v_add3_u32 v9, v9, v13, 0x7fff
	;; [unrolled: 1-line block ×6, first 2 shown]
	v_perm_b32 v2, v7, v2, 0x7060302
	s_delay_alu instid0(VALU_DEP_4) | instskip(NEXT) | instid1(VALU_DEP_4)
	v_perm_b32 v5, v5, v10, 0x7060302
	v_perm_b32 v4, v4, v9, 0x7060302
	s_delay_alu instid0(VALU_DEP_4)
	v_perm_b32 v3, v3, v8, 0x7060302
	ds_store_b128 v6, v[2:5]
.LBB12_5:
	s_or_b32 exec_lo, exec_lo, s0
	v_dual_mov_b32 v32, 0 :: v_dual_add_nc_u32 v47, s22, v1
	s_cmp_lt_i32 s19, 1
	s_mov_b32 s22, 0
	s_waitcnt lgkmcnt(0)
	s_delay_alu instid0(VALU_DEP_1)
	v_mov_b32_e32 v31, v32
	v_mov_b32_e32 v30, v32
	;; [unrolled: 1-line block ×31, first 2 shown]
	s_barrier
	buffer_gl0_inv
	s_cbranch_scc1 .LBB12_15
; %bb.6:
	v_or_b32_e32 v3, v47, v45
	s_abs_i32 s15, s13
	v_ashrrev_i32_e32 v5, 31, v41
	v_cvt_f32_u32_e32 v2, s15
	s_ashr_i32 s0, s17, 31
	v_mul_lo_u32 v1, v3, s18
	s_add_i32 s18, s12, s19
	v_lshrrev_b32_e32 v5, 29, v5
	v_rcp_iflag_f32_e32 v4, v2
	s_ashr_i32 s19, s13, 31
	s_ashr_i32 s13, s12, 31
	s_lshr_b32 s0, s0, 29
	s_lshl_b64 s[24:25], s[12:13], 1
	v_ashrrev_i32_e32 v2, 31, v1
	s_add_i32 s0, s17, s0
	s_sub_i32 s23, 0, s15
	v_mov_b32_e32 v25, 0
	v_lshlrev_b32_e32 v53, 5, v33
	v_lshlrev_b64 v[1:2], 1, v[1:2]
	s_waitcnt_depctr 0xfff
	v_mul_f32_e32 v4, 0x4f7ffffe, v4
	v_mov_b32_e32 v26, v25
	v_mov_b32_e32 v27, v25
	v_mov_b32_e32 v28, v25
	v_add_co_u32 v1, vcc_lo, s4, v1
	v_add_co_ci_u32_e32 v2, vcc_lo, s5, v2, vcc_lo
	v_cmp_gt_i32_e32 vcc_lo, s16, v3
	v_add_nc_u32_e32 v3, v41, v5
	v_cvt_u32_f32_e32 v4, v4
	v_lshlrev_b32_e32 v6, 2, v0
	s_ashr_i32 s4, s0, 3
	v_dual_cndmask_b32 v1, 0, v1 :: v_dual_cndmask_b32 v2, 0, v2
	s_delay_alu instid0(VALU_DEP_3) | instskip(NEXT) | instid1(VALU_DEP_3)
	v_readfirstlane_b32 s5, v4
	v_and_b32_e32 v52, 28, v6
	v_ashrrev_i32_e32 v42, 3, v3
	s_delay_alu instid0(VALU_DEP_4) | instskip(NEXT) | instid1(VALU_DEP_4)
	v_add_co_u32 v43, s0, v1, s24
	s_mul_i32 s23, s23, s5
	v_cmp_ne_u64_e32 vcc_lo, 0, v[1:2]
	v_add_co_ci_u32_e64 v44, s0, s25, v2, s0
	v_mov_b32_e32 v29, v25
	v_mov_b32_e32 v30, v25
	;; [unrolled: 1-line block ×28, first 2 shown]
	s_mul_hi_u32 s13, s5, s23
	s_delay_alu instid0(SALU_CYCLE_1)
	s_add_i32 s5, s5, s13
	s_add_i32 s13, s12, 16
	s_mov_b32 s12, 0xf000f
.LBB12_7:                               ; =>This Inner Loop Header: Depth=1
	s_cmp_lt_i32 s13, s18
	s_cselect_b32 s0, -1, 0
	s_delay_alu instid0(SALU_CYCLE_1) | instskip(NEXT) | instid1(SALU_CYCLE_1)
	s_and_b32 s0, s1, s0
	s_and_saveexec_b32 s23, s0
	s_cbranch_execz .LBB12_11
; %bb.8:                                ;   in Loop: Header=BB12_7 Depth=1
	s_abs_i32 s0, s13
	s_ashr_i32 s24, s13, 31
	s_mul_hi_u32 s25, s0, s5
	s_xor_b32 s27, s24, s19
	s_mul_i32 s26, s25, s15
	s_delay_alu instid0(SALU_CYCLE_1)
	s_sub_i32 s0, s0, s26
	s_add_i32 s26, s25, 1
	s_sub_i32 s28, s0, s15
	s_cmp_ge_u32 s0, s15
	s_cselect_b32 s25, s26, s25
	s_cselect_b32 s0, s28, s0
	s_add_i32 s26, s25, 1
	s_cmp_ge_u32 s0, s15
	s_cselect_b32 s0, s26, s25
	s_mov_b32 s25, exec_lo
	s_xor_b32 s0, s0, s27
	s_delay_alu instid0(SALU_CYCLE_1) | instskip(NEXT) | instid1(SALU_CYCLE_1)
	s_sub_i32 s26, s0, s27
	v_cmpx_ne_u32_e64 s26, v51
	s_cbranch_execz .LBB12_10
; %bb.9:                                ;   in Loop: Header=BB12_7 Depth=1
	v_mad_u64_u32 v[33:34], null, s26, s4, v[42:43]
	v_mad_u64_u32 v[35:36], null, s26, s17, v[41:42]
	v_mov_b32_e32 v51, s26
	s_delay_alu instid0(VALU_DEP_3) | instskip(NEXT) | instid1(VALU_DEP_3)
	v_ashrrev_i32_e32 v34, 31, v33
	v_ashrrev_i32_e32 v36, 31, v35
	s_delay_alu instid0(VALU_DEP_2) | instskip(NEXT) | instid1(VALU_DEP_1)
	v_lshlrev_b64 v[33:34], 2, v[33:34]
	v_add_co_u32 v33, s0, s8, v33
	s_delay_alu instid0(VALU_DEP_1) | instskip(SKIP_2) | instid1(VALU_DEP_1)
	v_add_co_ci_u32_e64 v34, s0, s9, v34, s0
	global_load_b32 v37, v[33:34], off
	v_lshlrev_b64 v[33:34], 1, v[35:36]
	v_add_co_u32 v33, s0, s10, v33
	s_delay_alu instid0(VALU_DEP_1) | instskip(SKIP_3) | instid1(VALU_DEP_1)
	v_add_co_ci_u32_e64 v34, s0, s11, v34, s0
	global_load_u16 v33, v[33:34], off
	s_waitcnt vmcnt(1)
	v_bfe_u32 v34, v37, v52, 4
	v_add_nc_u32_e32 v34, s21, v34
	s_delay_alu instid0(VALU_DEP_1) | instskip(SKIP_1) | instid1(VALU_DEP_1)
	v_cvt_f32_u32_e32 v34, v34
	s_waitcnt vmcnt(0)
	v_dual_add_f32 v33, 0x43000000, v34 :: v_dual_lshlrev_b32 v50, 16, v33
	s_delay_alu instid0(VALU_DEP_1)
	v_mul_f32_e64 v49, v50, -v33
.LBB12_10:                              ;   in Loop: Header=BB12_7 Depth=1
	s_or_b32 exec_lo, exec_lo, s25
	s_lshr_b32 s0, s24, 29
	s_delay_alu instid0(SALU_CYCLE_1) | instskip(NEXT) | instid1(SALU_CYCLE_1)
	s_add_i32 s0, s13, s0
	s_ashr_i32 s0, s0, 3
	s_delay_alu instid0(SALU_CYCLE_1) | instskip(NEXT) | instid1(VALU_DEP_1)
	v_add_nc_u32_e32 v35, s0, v46
	v_mad_u64_u32 v[33:34], null, v35, s17, v[41:42]
	s_delay_alu instid0(VALU_DEP_1) | instskip(NEXT) | instid1(VALU_DEP_1)
	v_ashrrev_i32_e32 v34, 31, v33
	v_lshlrev_b64 v[33:34], 2, v[33:34]
	s_delay_alu instid0(VALU_DEP_1) | instskip(NEXT) | instid1(VALU_DEP_1)
	v_add_co_u32 v33, s0, s6, v33
	v_add_co_ci_u32_e64 v34, s0, s7, v34, s0
	s_lshl_b32 s0, s22, 11
	s_delay_alu instid0(SALU_CYCLE_1)
	v_subrev_nc_u32_e32 v37, s0, v53
	global_load_b32 v33, v[33:34], off
	v_lshl_or_b32 v37, v48, 1, v37
	s_waitcnt vmcnt(0)
	v_lshrrev_b32_e32 v34, 4, v33
	v_lshrrev_b32_e32 v35, 8, v33
	;; [unrolled: 1-line block ×3, first 2 shown]
	v_and_or_b32 v33, v33, s12, 0x43004300
	s_delay_alu instid0(VALU_DEP_4) | instskip(NEXT) | instid1(VALU_DEP_4)
	v_and_or_b32 v34, v34, s12, 0x43004300
	v_and_or_b32 v35, v35, s12, 0x43004300
	s_delay_alu instid0(VALU_DEP_4) | instskip(NEXT) | instid1(VALU_DEP_4)
	v_and_or_b32 v36, v36, s12, 0x43004300
	v_and_b32_e32 v38, 0x430f0000, v33
	v_lshlrev_b32_e32 v33, 16, v33
	v_lshlrev_b32_e32 v39, 16, v34
	v_and_b32_e32 v34, 0x430f0000, v34
	v_lshlrev_b32_e32 v40, 16, v35
	v_fma_f32 v38, v38, v50, v49
	v_fma_f32 v33, v33, v50, v49
	v_and_b32_e32 v35, 0x430f0000, v35
	v_lshlrev_b32_e32 v54, 16, v36
	v_and_b32_e32 v36, 0x430f0000, v36
	v_bfe_u32 v55, v38, 16, 1
	v_bfe_u32 v56, v33, 16, 1
	v_fma_f32 v39, v39, v50, v49
	v_fma_f32 v34, v34, v50, v49
	;; [unrolled: 1-line block ×6, first 2 shown]
	v_add3_u32 v33, v33, v56, 0x7fff
	v_add3_u32 v38, v38, v55, 0x7fff
	v_bfe_u32 v55, v34, 16, 1
	v_bfe_u32 v56, v39, 16, 1
	;; [unrolled: 1-line block ×6, first 2 shown]
	v_add3_u32 v39, v39, v56, 0x7fff
	v_add3_u32 v40, v40, v57, 0x7fff
	;; [unrolled: 1-line block ×6, first 2 shown]
	v_perm_b32 v33, v38, v33, 0x7060302
	s_delay_alu instid0(VALU_DEP_4) | instskip(NEXT) | instid1(VALU_DEP_4)
	v_perm_b32 v36, v36, v54, 0x7060302
	v_perm_b32 v35, v35, v40, 0x7060302
	s_delay_alu instid0(VALU_DEP_4)
	v_perm_b32 v34, v34, v39, 0x7060302
	ds_store_b128 v37, v[33:36] offset:2048
.LBB12_11:                              ;   in Loop: Header=BB12_7 Depth=1
	s_or_b32 exec_lo, exec_lo, s23
	v_mov_b32_e32 v33, 0
	s_delay_alu instid0(VALU_DEP_1)
	v_mov_b32_e32 v34, v33
	v_mov_b32_e32 v35, v33
	;; [unrolled: 1-line block ×7, first 2 shown]
	s_and_saveexec_b32 s0, vcc_lo
; %bb.12:                               ;   in Loop: Header=BB12_7 Depth=1
	s_clause 0x1
	global_load_b128 v[33:36], v[43:44], off
	global_load_b128 v[37:40], v[43:44], off offset:16
; %bb.13:                               ;   in Loop: Header=BB12_7 Depth=1
	s_or_b32 exec_lo, exec_lo, s0
	v_lshlrev_b32_e32 v54, 5, v45
	v_add_co_u32 v43, s0, v43, 32
	s_delay_alu instid0(VALU_DEP_1) | instskip(NEXT) | instid1(VALU_DEP_3)
	v_add_co_ci_u32_e64 v44, s0, 0, v44, s0
	v_lshl_or_b32 v78, s22, 11, v54
	s_sub_i32 s22, 1, s22
	s_add_i32 s0, s13, 16
	s_cmp_ge_i32 s13, s18
	ds_load_b128 v[54:57], v78
	ds_load_b128 v[58:61], v78 offset:16
	ds_load_b128 v[66:69], v78 offset:528
	ds_load_b128 v[62:65], v78 offset:512
	ds_load_b128 v[74:77], v78 offset:1040
	ds_load_b128 v[70:73], v78 offset:1024
	ds_load_b128 v[82:85], v78 offset:1552
	ds_load_b128 v[78:81], v78 offset:1536
	s_waitcnt vmcnt(0) lgkmcnt(0)
	s_barrier
	buffer_gl0_inv
	v_wmma_f32_16x16x16_bf16 v[25:32], v[33:40], v[54:61], v[25:32]
	v_wmma_f32_16x16x16_bf16 v[17:24], v[33:40], v[62:69], v[17:24]
	;; [unrolled: 1-line block ×4, first 2 shown]
	s_cbranch_scc1 .LBB12_15
; %bb.14:                               ;   in Loop: Header=BB12_7 Depth=1
	s_mov_b32 s13, s0
	s_branch .LBB12_7
.LBB12_15:
	s_cmp_lt_u32 s20, 2
	s_mov_b32 s0, -1
	s_cselect_b32 s4, -1, 0
	s_delay_alu instid0(SALU_CYCLE_1)
	s_and_b32 vcc_lo, exec_lo, s4
	s_cbranch_vccnz .LBB12_23
; %bb.16:
	s_and_not1_b32 vcc_lo, exec_lo, s0
	s_cbranch_vccz .LBB12_73
.LBB12_17:
	s_or_b32 s0, s14, 16
	s_and_b32 vcc_lo, exec_lo, s4
	s_mov_b32 s1, -1
	s_cbranch_vccnz .LBB12_234
.LBB12_18:
	s_and_not1_b32 vcc_lo, exec_lo, s1
	s_cbranch_vccz .LBB12_284
.LBB12_19:
	s_or_b32 s0, s14, 32
	s_and_b32 vcc_lo, exec_lo, s4
	s_mov_b32 s1, -1
	s_cbranch_vccnz .LBB12_445
.LBB12_20:
	s_and_not1_b32 vcc_lo, exec_lo, s1
	s_cbranch_vccz .LBB12_495
.LBB12_21:
	s_or_b32 s0, s14, 48
	s_and_b32 vcc_lo, exec_lo, s4
	s_mov_b32 s1, -1
	s_cbranch_vccnz .LBB12_656
.LBB12_22:
	s_and_not1_b32 vcc_lo, exec_lo, s1
	s_cbranch_vccz .LBB12_706
	s_branch .LBB12_866
.LBB12_23:
	v_or_b32_e32 v33, s14, v45
	s_mov_b32 s0, exec_lo
	s_delay_alu instid0(VALU_DEP_1)
	v_cmpx_gt_i32_e64 s17, v33
	s_cbranch_execz .LBB12_72
; %bb.24:
	v_or_b32_e32 v35, v47, v46
	v_ashrrev_i32_e32 v34, 31, v33
	s_mov_b32 s1, exec_lo
	s_delay_alu instid0(VALU_DEP_2)
	v_cmpx_gt_i32_e64 s16, v35
	s_cbranch_execz .LBB12_30
; %bb.25:
	v_and_b32_e32 v36, 0x7f800000, v25
	s_delay_alu instid0(VALU_DEP_1) | instskip(SKIP_1) | instid1(SALU_CYCLE_1)
	v_cmp_ne_u32_e32 vcc_lo, 0x7f800000, v36
                                        ; implicit-def: $vgpr36
	s_and_saveexec_b32 s5, vcc_lo
	s_xor_b32 s5, exec_lo, s5
; %bb.26:
	v_bfe_u32 v36, v25, 16, 1
	s_delay_alu instid0(VALU_DEP_1)
	v_add3_u32 v36, v25, v36, 0x7fff
; %bb.27:
	s_and_not1_saveexec_b32 s5, s5
; %bb.28:
	v_and_b32_e32 v36, 0xffff, v25
	v_or_b32_e32 v37, 0x10000, v25
	s_delay_alu instid0(VALU_DEP_2) | instskip(NEXT) | instid1(VALU_DEP_2)
	v_cmp_eq_u32_e32 vcc_lo, 0, v36
	v_cndmask_b32_e32 v36, v37, v25, vcc_lo
; %bb.29:
	s_or_b32 exec_lo, exec_lo, s5
	v_mul_lo_u32 v37, v35, s17
	v_lshlrev_b64 v[39:40], 1, v[33:34]
	s_delay_alu instid0(VALU_DEP_2) | instskip(NEXT) | instid1(VALU_DEP_1)
	v_ashrrev_i32_e32 v38, 31, v37
	v_lshlrev_b64 v[37:38], 1, v[37:38]
	s_delay_alu instid0(VALU_DEP_1) | instskip(NEXT) | instid1(VALU_DEP_2)
	v_add_co_u32 v37, vcc_lo, s2, v37
	v_add_co_ci_u32_e32 v38, vcc_lo, s3, v38, vcc_lo
	s_delay_alu instid0(VALU_DEP_2) | instskip(NEXT) | instid1(VALU_DEP_2)
	v_add_co_u32 v37, vcc_lo, v37, v39
	v_add_co_ci_u32_e32 v38, vcc_lo, v38, v40, vcc_lo
	global_store_d16_hi_b16 v[37:38], v36, off
.LBB12_30:
	s_or_b32 exec_lo, exec_lo, s1
	v_or_b32_e32 v36, 2, v35
	s_mov_b32 s1, exec_lo
	s_delay_alu instid0(VALU_DEP_1)
	v_cmpx_gt_i32_e64 s16, v36
	s_cbranch_execz .LBB12_36
; %bb.31:
	v_and_b32_e32 v37, 0x7f800000, v26
	s_delay_alu instid0(VALU_DEP_1) | instskip(SKIP_1) | instid1(SALU_CYCLE_1)
	v_cmp_ne_u32_e32 vcc_lo, 0x7f800000, v37
                                        ; implicit-def: $vgpr37
	s_and_saveexec_b32 s5, vcc_lo
	s_xor_b32 s5, exec_lo, s5
; %bb.32:
	v_bfe_u32 v37, v26, 16, 1
	s_delay_alu instid0(VALU_DEP_1)
	v_add3_u32 v37, v26, v37, 0x7fff
; %bb.33:
	s_and_not1_saveexec_b32 s5, s5
; %bb.34:
	v_and_b32_e32 v37, 0xffff, v26
	v_or_b32_e32 v38, 0x10000, v26
	s_delay_alu instid0(VALU_DEP_2) | instskip(NEXT) | instid1(VALU_DEP_2)
	v_cmp_eq_u32_e32 vcc_lo, 0, v37
	v_cndmask_b32_e32 v37, v38, v26, vcc_lo
; %bb.35:
	s_or_b32 exec_lo, exec_lo, s5
	v_mul_lo_u32 v38, v36, s17
	v_lshlrev_b64 v[40:41], 1, v[33:34]
	s_delay_alu instid0(VALU_DEP_2) | instskip(NEXT) | instid1(VALU_DEP_1)
	v_ashrrev_i32_e32 v39, 31, v38
	v_lshlrev_b64 v[38:39], 1, v[38:39]
	s_delay_alu instid0(VALU_DEP_1) | instskip(NEXT) | instid1(VALU_DEP_2)
	v_add_co_u32 v36, vcc_lo, s2, v38
	v_add_co_ci_u32_e32 v39, vcc_lo, s3, v39, vcc_lo
	s_delay_alu instid0(VALU_DEP_2) | instskip(NEXT) | instid1(VALU_DEP_2)
	v_add_co_u32 v38, vcc_lo, v36, v40
	v_add_co_ci_u32_e32 v39, vcc_lo, v39, v41, vcc_lo
	global_store_d16_hi_b16 v[38:39], v37, off
.LBB12_36:
	s_or_b32 exec_lo, exec_lo, s1
	v_or_b32_e32 v36, 4, v35
	s_mov_b32 s1, exec_lo
	s_delay_alu instid0(VALU_DEP_1)
	v_cmpx_gt_i32_e64 s16, v36
	s_cbranch_execz .LBB12_42
; %bb.37:
	v_and_b32_e32 v37, 0x7f800000, v27
	s_delay_alu instid0(VALU_DEP_1) | instskip(SKIP_1) | instid1(SALU_CYCLE_1)
	v_cmp_ne_u32_e32 vcc_lo, 0x7f800000, v37
                                        ; implicit-def: $vgpr37
	s_and_saveexec_b32 s5, vcc_lo
	s_xor_b32 s5, exec_lo, s5
; %bb.38:
	v_bfe_u32 v37, v27, 16, 1
	s_delay_alu instid0(VALU_DEP_1)
	v_add3_u32 v37, v27, v37, 0x7fff
; %bb.39:
	s_and_not1_saveexec_b32 s5, s5
; %bb.40:
	v_and_b32_e32 v37, 0xffff, v27
	v_or_b32_e32 v38, 0x10000, v27
	s_delay_alu instid0(VALU_DEP_2) | instskip(NEXT) | instid1(VALU_DEP_2)
	v_cmp_eq_u32_e32 vcc_lo, 0, v37
	v_cndmask_b32_e32 v37, v38, v27, vcc_lo
; %bb.41:
	s_or_b32 exec_lo, exec_lo, s5
	v_mul_lo_u32 v38, v36, s17
	v_lshlrev_b64 v[40:41], 1, v[33:34]
	s_delay_alu instid0(VALU_DEP_2) | instskip(NEXT) | instid1(VALU_DEP_1)
	v_ashrrev_i32_e32 v39, 31, v38
	v_lshlrev_b64 v[38:39], 1, v[38:39]
	s_delay_alu instid0(VALU_DEP_1) | instskip(NEXT) | instid1(VALU_DEP_2)
	v_add_co_u32 v36, vcc_lo, s2, v38
	v_add_co_ci_u32_e32 v39, vcc_lo, s3, v39, vcc_lo
	s_delay_alu instid0(VALU_DEP_2) | instskip(NEXT) | instid1(VALU_DEP_2)
	v_add_co_u32 v38, vcc_lo, v36, v40
	v_add_co_ci_u32_e32 v39, vcc_lo, v39, v41, vcc_lo
	global_store_d16_hi_b16 v[38:39], v37, off
.LBB12_42:
	s_or_b32 exec_lo, exec_lo, s1
	v_or_b32_e32 v36, 6, v35
	s_mov_b32 s1, exec_lo
	s_delay_alu instid0(VALU_DEP_1)
	v_cmpx_gt_i32_e64 s16, v36
	s_cbranch_execz .LBB12_48
; %bb.43:
	v_and_b32_e32 v37, 0x7f800000, v28
	s_delay_alu instid0(VALU_DEP_1) | instskip(SKIP_1) | instid1(SALU_CYCLE_1)
	v_cmp_ne_u32_e32 vcc_lo, 0x7f800000, v37
                                        ; implicit-def: $vgpr37
	s_and_saveexec_b32 s5, vcc_lo
	s_xor_b32 s5, exec_lo, s5
; %bb.44:
	v_bfe_u32 v37, v28, 16, 1
	s_delay_alu instid0(VALU_DEP_1)
	v_add3_u32 v37, v28, v37, 0x7fff
; %bb.45:
	s_and_not1_saveexec_b32 s5, s5
; %bb.46:
	v_and_b32_e32 v37, 0xffff, v28
	v_or_b32_e32 v38, 0x10000, v28
	s_delay_alu instid0(VALU_DEP_2) | instskip(NEXT) | instid1(VALU_DEP_2)
	v_cmp_eq_u32_e32 vcc_lo, 0, v37
	v_cndmask_b32_e32 v37, v38, v28, vcc_lo
; %bb.47:
	s_or_b32 exec_lo, exec_lo, s5
	v_mul_lo_u32 v38, v36, s17
	v_lshlrev_b64 v[40:41], 1, v[33:34]
	s_delay_alu instid0(VALU_DEP_2) | instskip(NEXT) | instid1(VALU_DEP_1)
	v_ashrrev_i32_e32 v39, 31, v38
	v_lshlrev_b64 v[38:39], 1, v[38:39]
	s_delay_alu instid0(VALU_DEP_1) | instskip(NEXT) | instid1(VALU_DEP_2)
	v_add_co_u32 v36, vcc_lo, s2, v38
	v_add_co_ci_u32_e32 v39, vcc_lo, s3, v39, vcc_lo
	s_delay_alu instid0(VALU_DEP_2) | instskip(NEXT) | instid1(VALU_DEP_2)
	v_add_co_u32 v38, vcc_lo, v36, v40
	v_add_co_ci_u32_e32 v39, vcc_lo, v39, v41, vcc_lo
	global_store_d16_hi_b16 v[38:39], v37, off
.LBB12_48:
	s_or_b32 exec_lo, exec_lo, s1
	v_or_b32_e32 v36, 8, v35
	s_mov_b32 s1, exec_lo
	s_delay_alu instid0(VALU_DEP_1)
	v_cmpx_gt_i32_e64 s16, v36
	s_cbranch_execz .LBB12_54
; %bb.49:
	v_and_b32_e32 v37, 0x7f800000, v29
	s_delay_alu instid0(VALU_DEP_1) | instskip(SKIP_1) | instid1(SALU_CYCLE_1)
	v_cmp_ne_u32_e32 vcc_lo, 0x7f800000, v37
                                        ; implicit-def: $vgpr37
	s_and_saveexec_b32 s5, vcc_lo
	s_xor_b32 s5, exec_lo, s5
; %bb.50:
	v_bfe_u32 v37, v29, 16, 1
	s_delay_alu instid0(VALU_DEP_1)
	v_add3_u32 v37, v29, v37, 0x7fff
; %bb.51:
	s_and_not1_saveexec_b32 s5, s5
; %bb.52:
	v_and_b32_e32 v37, 0xffff, v29
	v_or_b32_e32 v38, 0x10000, v29
	s_delay_alu instid0(VALU_DEP_2) | instskip(NEXT) | instid1(VALU_DEP_2)
	v_cmp_eq_u32_e32 vcc_lo, 0, v37
	v_cndmask_b32_e32 v37, v38, v29, vcc_lo
; %bb.53:
	s_or_b32 exec_lo, exec_lo, s5
	v_mul_lo_u32 v38, v36, s17
	v_lshlrev_b64 v[40:41], 1, v[33:34]
	s_delay_alu instid0(VALU_DEP_2) | instskip(NEXT) | instid1(VALU_DEP_1)
	v_ashrrev_i32_e32 v39, 31, v38
	v_lshlrev_b64 v[38:39], 1, v[38:39]
	s_delay_alu instid0(VALU_DEP_1) | instskip(NEXT) | instid1(VALU_DEP_2)
	v_add_co_u32 v36, vcc_lo, s2, v38
	v_add_co_ci_u32_e32 v39, vcc_lo, s3, v39, vcc_lo
	s_delay_alu instid0(VALU_DEP_2) | instskip(NEXT) | instid1(VALU_DEP_2)
	v_add_co_u32 v38, vcc_lo, v36, v40
	v_add_co_ci_u32_e32 v39, vcc_lo, v39, v41, vcc_lo
	global_store_d16_hi_b16 v[38:39], v37, off
.LBB12_54:
	s_or_b32 exec_lo, exec_lo, s1
	v_or_b32_e32 v36, 10, v35
	s_mov_b32 s1, exec_lo
	s_delay_alu instid0(VALU_DEP_1)
	v_cmpx_gt_i32_e64 s16, v36
	s_cbranch_execz .LBB12_60
; %bb.55:
	v_and_b32_e32 v37, 0x7f800000, v30
	s_delay_alu instid0(VALU_DEP_1) | instskip(SKIP_1) | instid1(SALU_CYCLE_1)
	v_cmp_ne_u32_e32 vcc_lo, 0x7f800000, v37
                                        ; implicit-def: $vgpr37
	s_and_saveexec_b32 s5, vcc_lo
	s_xor_b32 s5, exec_lo, s5
; %bb.56:
	v_bfe_u32 v37, v30, 16, 1
	s_delay_alu instid0(VALU_DEP_1)
	v_add3_u32 v37, v30, v37, 0x7fff
; %bb.57:
	s_and_not1_saveexec_b32 s5, s5
; %bb.58:
	v_and_b32_e32 v37, 0xffff, v30
	v_or_b32_e32 v38, 0x10000, v30
	s_delay_alu instid0(VALU_DEP_2) | instskip(NEXT) | instid1(VALU_DEP_2)
	v_cmp_eq_u32_e32 vcc_lo, 0, v37
	v_cndmask_b32_e32 v37, v38, v30, vcc_lo
; %bb.59:
	s_or_b32 exec_lo, exec_lo, s5
	v_mul_lo_u32 v38, v36, s17
	v_lshlrev_b64 v[40:41], 1, v[33:34]
	s_delay_alu instid0(VALU_DEP_2) | instskip(NEXT) | instid1(VALU_DEP_1)
	v_ashrrev_i32_e32 v39, 31, v38
	v_lshlrev_b64 v[38:39], 1, v[38:39]
	s_delay_alu instid0(VALU_DEP_1) | instskip(NEXT) | instid1(VALU_DEP_2)
	v_add_co_u32 v36, vcc_lo, s2, v38
	v_add_co_ci_u32_e32 v39, vcc_lo, s3, v39, vcc_lo
	s_delay_alu instid0(VALU_DEP_2) | instskip(NEXT) | instid1(VALU_DEP_2)
	v_add_co_u32 v38, vcc_lo, v36, v40
	v_add_co_ci_u32_e32 v39, vcc_lo, v39, v41, vcc_lo
	global_store_d16_hi_b16 v[38:39], v37, off
.LBB12_60:
	s_or_b32 exec_lo, exec_lo, s1
	v_or_b32_e32 v36, 12, v35
	s_mov_b32 s1, exec_lo
	s_delay_alu instid0(VALU_DEP_1)
	v_cmpx_gt_i32_e64 s16, v36
	s_cbranch_execz .LBB12_66
; %bb.61:
	v_and_b32_e32 v37, 0x7f800000, v31
	s_delay_alu instid0(VALU_DEP_1) | instskip(SKIP_1) | instid1(SALU_CYCLE_1)
	v_cmp_ne_u32_e32 vcc_lo, 0x7f800000, v37
                                        ; implicit-def: $vgpr37
	s_and_saveexec_b32 s5, vcc_lo
	s_xor_b32 s5, exec_lo, s5
; %bb.62:
	v_bfe_u32 v37, v31, 16, 1
	s_delay_alu instid0(VALU_DEP_1)
	v_add3_u32 v37, v31, v37, 0x7fff
; %bb.63:
	s_and_not1_saveexec_b32 s5, s5
; %bb.64:
	v_and_b32_e32 v37, 0xffff, v31
	v_or_b32_e32 v38, 0x10000, v31
	s_delay_alu instid0(VALU_DEP_2) | instskip(NEXT) | instid1(VALU_DEP_2)
	v_cmp_eq_u32_e32 vcc_lo, 0, v37
	v_cndmask_b32_e32 v37, v38, v31, vcc_lo
; %bb.65:
	s_or_b32 exec_lo, exec_lo, s5
	v_mul_lo_u32 v38, v36, s17
	v_lshlrev_b64 v[40:41], 1, v[33:34]
	s_delay_alu instid0(VALU_DEP_2) | instskip(NEXT) | instid1(VALU_DEP_1)
	v_ashrrev_i32_e32 v39, 31, v38
	v_lshlrev_b64 v[38:39], 1, v[38:39]
	s_delay_alu instid0(VALU_DEP_1) | instskip(NEXT) | instid1(VALU_DEP_2)
	v_add_co_u32 v36, vcc_lo, s2, v38
	v_add_co_ci_u32_e32 v39, vcc_lo, s3, v39, vcc_lo
	s_delay_alu instid0(VALU_DEP_2) | instskip(NEXT) | instid1(VALU_DEP_2)
	v_add_co_u32 v38, vcc_lo, v36, v40
	v_add_co_ci_u32_e32 v39, vcc_lo, v39, v41, vcc_lo
	global_store_d16_hi_b16 v[38:39], v37, off
.LBB12_66:
	s_or_b32 exec_lo, exec_lo, s1
	v_or_b32_e32 v35, 14, v35
	s_delay_alu instid0(VALU_DEP_1)
	v_cmp_gt_i32_e32 vcc_lo, s16, v35
	s_and_b32 exec_lo, exec_lo, vcc_lo
	s_cbranch_execz .LBB12_72
; %bb.67:
	v_and_b32_e32 v36, 0x7f800000, v32
	s_delay_alu instid0(VALU_DEP_1) | instskip(SKIP_1) | instid1(SALU_CYCLE_1)
	v_cmp_ne_u32_e32 vcc_lo, 0x7f800000, v36
                                        ; implicit-def: $vgpr36
	s_and_saveexec_b32 s1, vcc_lo
	s_xor_b32 s1, exec_lo, s1
; %bb.68:
	v_bfe_u32 v36, v32, 16, 1
	s_delay_alu instid0(VALU_DEP_1)
	v_add3_u32 v36, v32, v36, 0x7fff
; %bb.69:
	s_and_not1_saveexec_b32 s1, s1
; %bb.70:
	v_and_b32_e32 v36, 0xffff, v32
	v_or_b32_e32 v37, 0x10000, v32
	s_delay_alu instid0(VALU_DEP_2) | instskip(NEXT) | instid1(VALU_DEP_2)
	v_cmp_eq_u32_e32 vcc_lo, 0, v36
	v_cndmask_b32_e32 v36, v37, v32, vcc_lo
; %bb.71:
	s_or_b32 exec_lo, exec_lo, s1
	v_mul_lo_u32 v37, v35, s17
	v_lshlrev_b64 v[33:34], 1, v[33:34]
	s_delay_alu instid0(VALU_DEP_2) | instskip(NEXT) | instid1(VALU_DEP_1)
	v_ashrrev_i32_e32 v38, 31, v37
	v_lshlrev_b64 v[37:38], 1, v[37:38]
	s_delay_alu instid0(VALU_DEP_1) | instskip(NEXT) | instid1(VALU_DEP_2)
	v_add_co_u32 v35, vcc_lo, s2, v37
	v_add_co_ci_u32_e32 v37, vcc_lo, s3, v38, vcc_lo
	s_delay_alu instid0(VALU_DEP_2) | instskip(NEXT) | instid1(VALU_DEP_2)
	v_add_co_u32 v33, vcc_lo, v35, v33
	v_add_co_ci_u32_e32 v34, vcc_lo, v37, v34, vcc_lo
	global_store_d16_hi_b16 v[33:34], v36, off
.LBB12_72:
	s_or_b32 exec_lo, exec_lo, s0
	s_cbranch_execnz .LBB12_17
.LBB12_73:
	v_mbcnt_lo_u32_b32 v33, -1, 0
	s_delay_alu instid0(VALU_DEP_1) | instskip(NEXT) | instid1(VALU_DEP_1)
	v_xor_b32_e32 v34, 1, v33
	v_cmp_gt_i32_e32 vcc_lo, 32, v34
	v_dual_cndmask_b32 v33, v33, v34 :: v_dual_and_b32 v34, 1, v0
	s_delay_alu instid0(VALU_DEP_1) | instskip(SKIP_1) | instid1(VALU_DEP_3)
	v_lshlrev_b32_e32 v39, 2, v33
	v_or_b32_e32 v33, s14, v45
	v_cmp_eq_u32_e32 vcc_lo, 0, v34
	ds_bpermute_b32 v35, v39, v25
	v_ashrrev_i32_e32 v34, 31, v33
	s_and_saveexec_b32 s5, vcc_lo
	s_cbranch_execz .LBB12_93
; %bb.74:
	v_or_b32_e32 v36, v47, v46
	v_cmp_gt_i32_e64 s1, s17, v33
	s_delay_alu instid0(VALU_DEP_2) | instskip(NEXT) | instid1(VALU_DEP_1)
	v_cmp_gt_i32_e64 s0, s16, v36
	s_and_b32 s0, s0, s1
	s_delay_alu instid0(SALU_CYCLE_1)
	s_and_b32 exec_lo, exec_lo, s0
	s_cbranch_execz .LBB12_93
; %bb.75:
	v_and_b32_e32 v37, 0x7f800000, v25
	s_delay_alu instid0(VALU_DEP_1) | instskip(NEXT) | instid1(VALU_DEP_1)
	v_cmp_ne_u32_e64 s0, 0x7f800000, v37
                                        ; implicit-def: $vgpr37
	s_and_saveexec_b32 s1, s0
	s_delay_alu instid0(SALU_CYCLE_1)
	s_xor_b32 s0, exec_lo, s1
; %bb.76:
	v_bfe_u32 v37, v25, 16, 1
	s_delay_alu instid0(VALU_DEP_1)
	v_add3_u32 v37, v25, v37, 0x7fff
; %bb.77:
	s_and_not1_saveexec_b32 s1, s0
; %bb.78:
	v_and_b32_e32 v37, 0xffff, v25
	v_or_b32_e32 v38, 0x10000, v25
	s_delay_alu instid0(VALU_DEP_2) | instskip(NEXT) | instid1(VALU_DEP_1)
	v_cmp_eq_u32_e64 s0, 0, v37
	v_cndmask_b32_e64 v37, v38, v25, s0
; %bb.79:
	s_or_b32 exec_lo, exec_lo, s1
	s_waitcnt lgkmcnt(0)
	v_and_b32_e32 v25, 0x7f800000, v35
                                        ; implicit-def: $vgpr40
	s_delay_alu instid0(VALU_DEP_1) | instskip(NEXT) | instid1(VALU_DEP_1)
	v_cmp_ne_u32_e64 s0, 0x7f800000, v25
	s_and_saveexec_b32 s1, s0
	s_delay_alu instid0(SALU_CYCLE_1)
	s_xor_b32 s0, exec_lo, s1
; %bb.80:
	v_bfe_u32 v25, v35, 16, 1
	s_delay_alu instid0(VALU_DEP_1)
	v_add3_u32 v40, v35, v25, 0x7fff
                                        ; implicit-def: $vgpr35
; %bb.81:
	s_and_not1_saveexec_b32 s1, s0
; %bb.82:
	v_and_b32_e32 v25, 0xffff, v35
	v_or_b32_e32 v38, 0x10000, v35
	s_delay_alu instid0(VALU_DEP_2) | instskip(NEXT) | instid1(VALU_DEP_1)
	v_cmp_eq_u32_e64 s0, 0, v25
	v_cndmask_b32_e64 v40, v38, v35, s0
; %bb.83:
	s_or_b32 exec_lo, exec_lo, s1
	v_mul_lo_u32 v35, v36, s17
	v_lshlrev_b64 v[41:42], 1, v[33:34]
	s_delay_alu instid0(VALU_DEP_3) | instskip(SKIP_1) | instid1(VALU_DEP_3)
	v_and_b32_e32 v40, 0xffff0000, v40
	s_mov_b32 s1, 0
	v_ashrrev_i32_e32 v36, 31, v35
	s_delay_alu instid0(VALU_DEP_1) | instskip(NEXT) | instid1(VALU_DEP_1)
	v_lshlrev_b64 v[35:36], 1, v[35:36]
	v_add_co_u32 v25, s0, s2, v35
	s_delay_alu instid0(VALU_DEP_1) | instskip(NEXT) | instid1(VALU_DEP_2)
	v_add_co_ci_u32_e64 v36, s0, s3, v36, s0
	v_add_co_u32 v35, s0, v25, v41
	s_delay_alu instid0(VALU_DEP_1)
	v_add_co_ci_u32_e64 v36, s0, v36, v42, s0
	v_and_b32_e32 v25, 0xffff0000, v37
	global_load_b32 v38, v[35:36], off
	s_branch .LBB12_85
.LBB12_84:                              ;   in Loop: Header=BB12_85 Depth=1
	s_or_b32 exec_lo, exec_lo, s6
	v_lshrrev_b32_e32 v37, 16, v37
	s_delay_alu instid0(VALU_DEP_1) | instskip(SKIP_4) | instid1(VALU_DEP_2)
	v_and_or_b32 v37, 0xffff0000, v42, v37
	global_atomic_cmpswap_b32 v37, v[35:36], v[37:38], off glc
	s_waitcnt vmcnt(0)
	v_cmp_eq_u32_e64 s0, v37, v38
	v_mov_b32_e32 v38, v37
	s_or_b32 s1, s0, s1
	s_delay_alu instid0(SALU_CYCLE_1)
	s_and_not1_b32 exec_lo, exec_lo, s1
	s_cbranch_execz .LBB12_93
.LBB12_85:                              ; =>This Inner Loop Header: Depth=1
	s_waitcnt vmcnt(0)
	v_lshlrev_b32_e32 v37, 16, v38
	s_delay_alu instid0(VALU_DEP_1) | instskip(NEXT) | instid1(VALU_DEP_1)
	v_add_f32_e32 v41, v25, v37
	v_and_b32_e32 v37, 0x7f800000, v41
	s_delay_alu instid0(VALU_DEP_1) | instskip(NEXT) | instid1(VALU_DEP_1)
	v_cmp_ne_u32_e64 s0, 0x7f800000, v37
                                        ; implicit-def: $vgpr37
	s_and_saveexec_b32 s6, s0
	s_delay_alu instid0(SALU_CYCLE_1)
	s_xor_b32 s0, exec_lo, s6
; %bb.86:                               ;   in Loop: Header=BB12_85 Depth=1
	v_bfe_u32 v37, v41, 16, 1
	s_delay_alu instid0(VALU_DEP_1)
	v_add3_u32 v37, v41, v37, 0x7fff
                                        ; implicit-def: $vgpr41
; %bb.87:                               ;   in Loop: Header=BB12_85 Depth=1
	s_and_not1_saveexec_b32 s6, s0
; %bb.88:                               ;   in Loop: Header=BB12_85 Depth=1
	v_and_b32_e32 v37, 0xffff, v41
	v_or_b32_e32 v42, 0x10000, v41
	s_delay_alu instid0(VALU_DEP_2) | instskip(NEXT) | instid1(VALU_DEP_1)
	v_cmp_eq_u32_e64 s0, 0, v37
	v_cndmask_b32_e64 v37, v42, v41, s0
; %bb.89:                               ;   in Loop: Header=BB12_85 Depth=1
	s_or_b32 exec_lo, exec_lo, s6
	v_and_b32_e32 v41, 0xffff0000, v38
	s_delay_alu instid0(VALU_DEP_1) | instskip(NEXT) | instid1(VALU_DEP_1)
	v_add_f32_e32 v41, v40, v41
	v_and_b32_e32 v42, 0x7f800000, v41
	s_delay_alu instid0(VALU_DEP_1) | instskip(NEXT) | instid1(VALU_DEP_1)
	v_cmp_ne_u32_e64 s0, 0x7f800000, v42
                                        ; implicit-def: $vgpr42
	s_and_saveexec_b32 s6, s0
	s_delay_alu instid0(SALU_CYCLE_1)
	s_xor_b32 s0, exec_lo, s6
; %bb.90:                               ;   in Loop: Header=BB12_85 Depth=1
	v_bfe_u32 v42, v41, 16, 1
	s_delay_alu instid0(VALU_DEP_1)
	v_add3_u32 v42, v41, v42, 0x7fff
                                        ; implicit-def: $vgpr41
; %bb.91:                               ;   in Loop: Header=BB12_85 Depth=1
	s_and_not1_saveexec_b32 s6, s0
	s_cbranch_execz .LBB12_84
; %bb.92:                               ;   in Loop: Header=BB12_85 Depth=1
	v_and_b32_e32 v42, 0xffff, v41
	v_or_b32_e32 v43, 0x10000, v41
	s_delay_alu instid0(VALU_DEP_2) | instskip(NEXT) | instid1(VALU_DEP_1)
	v_cmp_eq_u32_e64 s0, 0, v42
	v_cndmask_b32_e64 v42, v43, v41, s0
	s_branch .LBB12_84
.LBB12_93:
	s_or_b32 exec_lo, exec_lo, s5
	s_waitcnt lgkmcnt(0)
	ds_bpermute_b32 v35, v39, v26
	s_and_saveexec_b32 s5, vcc_lo
	s_cbranch_execz .LBB12_113
; %bb.94:
	v_or3_b32 v25, v46, v47, 2
	v_cmp_gt_i32_e64 s1, s17, v33
	s_delay_alu instid0(VALU_DEP_2) | instskip(NEXT) | instid1(VALU_DEP_1)
	v_cmp_gt_i32_e64 s0, s16, v25
	s_and_b32 s0, s0, s1
	s_delay_alu instid0(SALU_CYCLE_1)
	s_and_b32 exec_lo, exec_lo, s0
	s_cbranch_execz .LBB12_113
; %bb.95:
	v_and_b32_e32 v36, 0x7f800000, v26
                                        ; implicit-def: $vgpr37
	s_delay_alu instid0(VALU_DEP_1) | instskip(NEXT) | instid1(VALU_DEP_1)
	v_cmp_ne_u32_e64 s0, 0x7f800000, v36
	s_and_saveexec_b32 s1, s0
	s_delay_alu instid0(SALU_CYCLE_1)
	s_xor_b32 s0, exec_lo, s1
; %bb.96:
	v_bfe_u32 v36, v26, 16, 1
	s_delay_alu instid0(VALU_DEP_1)
	v_add3_u32 v37, v26, v36, 0x7fff
; %bb.97:
	s_and_not1_saveexec_b32 s1, s0
; %bb.98:
	v_and_b32_e32 v36, 0xffff, v26
	v_or_b32_e32 v37, 0x10000, v26
	s_delay_alu instid0(VALU_DEP_2) | instskip(NEXT) | instid1(VALU_DEP_1)
	v_cmp_eq_u32_e64 s0, 0, v36
	v_cndmask_b32_e64 v37, v37, v26, s0
; %bb.99:
	s_or_b32 exec_lo, exec_lo, s1
	s_waitcnt lgkmcnt(0)
	v_and_b32_e32 v26, 0x7f800000, v35
                                        ; implicit-def: $vgpr38
	s_delay_alu instid0(VALU_DEP_1) | instskip(NEXT) | instid1(VALU_DEP_1)
	v_cmp_ne_u32_e64 s0, 0x7f800000, v26
	s_and_saveexec_b32 s1, s0
	s_delay_alu instid0(SALU_CYCLE_1)
	s_xor_b32 s0, exec_lo, s1
; %bb.100:
	v_bfe_u32 v26, v35, 16, 1
	s_delay_alu instid0(VALU_DEP_1)
	v_add3_u32 v38, v35, v26, 0x7fff
                                        ; implicit-def: $vgpr35
; %bb.101:
	s_and_not1_saveexec_b32 s1, s0
; %bb.102:
	v_and_b32_e32 v26, 0xffff, v35
	v_or_b32_e32 v36, 0x10000, v35
	s_delay_alu instid0(VALU_DEP_2) | instskip(NEXT) | instid1(VALU_DEP_1)
	v_cmp_eq_u32_e64 s0, 0, v26
	v_cndmask_b32_e64 v38, v36, v35, s0
; %bb.103:
	s_or_b32 exec_lo, exec_lo, s1
	v_mul_lo_u32 v25, v25, s17
	v_lshlrev_b64 v[35:36], 1, v[33:34]
	v_and_b32_e32 v37, 0xffff0000, v37
	v_and_b32_e32 v38, 0xffff0000, v38
	s_mov_b32 s1, 0
	s_delay_alu instid0(VALU_DEP_4) | instskip(NEXT) | instid1(VALU_DEP_1)
	v_ashrrev_i32_e32 v26, 31, v25
	v_lshlrev_b64 v[25:26], 1, v[25:26]
	s_delay_alu instid0(VALU_DEP_1) | instskip(NEXT) | instid1(VALU_DEP_1)
	v_add_co_u32 v25, s0, s2, v25
	v_add_co_ci_u32_e64 v26, s0, s3, v26, s0
	s_delay_alu instid0(VALU_DEP_2) | instskip(NEXT) | instid1(VALU_DEP_1)
	v_add_co_u32 v25, s0, v25, v35
	v_add_co_ci_u32_e64 v26, s0, v26, v36, s0
	global_load_b32 v36, v[25:26], off
	s_branch .LBB12_105
.LBB12_104:                             ;   in Loop: Header=BB12_105 Depth=1
	s_or_b32 exec_lo, exec_lo, s6
	v_lshrrev_b32_e32 v35, 16, v35
	s_delay_alu instid0(VALU_DEP_1) | instskip(SKIP_4) | instid1(VALU_DEP_2)
	v_and_or_b32 v35, 0xffff0000, v41, v35
	global_atomic_cmpswap_b32 v35, v[25:26], v[35:36], off glc
	s_waitcnt vmcnt(0)
	v_cmp_eq_u32_e64 s0, v35, v36
	v_mov_b32_e32 v36, v35
	s_or_b32 s1, s0, s1
	s_delay_alu instid0(SALU_CYCLE_1)
	s_and_not1_b32 exec_lo, exec_lo, s1
	s_cbranch_execz .LBB12_113
.LBB12_105:                             ; =>This Inner Loop Header: Depth=1
	s_waitcnt vmcnt(0)
	v_lshlrev_b32_e32 v35, 16, v36
	s_delay_alu instid0(VALU_DEP_1) | instskip(NEXT) | instid1(VALU_DEP_1)
	v_add_f32_e32 v40, v37, v35
	v_and_b32_e32 v35, 0x7f800000, v40
	s_delay_alu instid0(VALU_DEP_1) | instskip(NEXT) | instid1(VALU_DEP_1)
	v_cmp_ne_u32_e64 s0, 0x7f800000, v35
                                        ; implicit-def: $vgpr35
	s_and_saveexec_b32 s6, s0
	s_delay_alu instid0(SALU_CYCLE_1)
	s_xor_b32 s0, exec_lo, s6
; %bb.106:                              ;   in Loop: Header=BB12_105 Depth=1
	v_bfe_u32 v35, v40, 16, 1
	s_delay_alu instid0(VALU_DEP_1)
	v_add3_u32 v35, v40, v35, 0x7fff
                                        ; implicit-def: $vgpr40
; %bb.107:                              ;   in Loop: Header=BB12_105 Depth=1
	s_and_not1_saveexec_b32 s6, s0
; %bb.108:                              ;   in Loop: Header=BB12_105 Depth=1
	v_and_b32_e32 v35, 0xffff, v40
	v_or_b32_e32 v41, 0x10000, v40
	s_delay_alu instid0(VALU_DEP_2) | instskip(NEXT) | instid1(VALU_DEP_1)
	v_cmp_eq_u32_e64 s0, 0, v35
	v_cndmask_b32_e64 v35, v41, v40, s0
; %bb.109:                              ;   in Loop: Header=BB12_105 Depth=1
	s_or_b32 exec_lo, exec_lo, s6
	v_and_b32_e32 v40, 0xffff0000, v36
	s_delay_alu instid0(VALU_DEP_1) | instskip(NEXT) | instid1(VALU_DEP_1)
	v_add_f32_e32 v40, v38, v40
	v_and_b32_e32 v41, 0x7f800000, v40
	s_delay_alu instid0(VALU_DEP_1) | instskip(NEXT) | instid1(VALU_DEP_1)
	v_cmp_ne_u32_e64 s0, 0x7f800000, v41
                                        ; implicit-def: $vgpr41
	s_and_saveexec_b32 s6, s0
	s_delay_alu instid0(SALU_CYCLE_1)
	s_xor_b32 s0, exec_lo, s6
; %bb.110:                              ;   in Loop: Header=BB12_105 Depth=1
	v_bfe_u32 v41, v40, 16, 1
	s_delay_alu instid0(VALU_DEP_1)
	v_add3_u32 v41, v40, v41, 0x7fff
                                        ; implicit-def: $vgpr40
; %bb.111:                              ;   in Loop: Header=BB12_105 Depth=1
	s_and_not1_saveexec_b32 s6, s0
	s_cbranch_execz .LBB12_104
; %bb.112:                              ;   in Loop: Header=BB12_105 Depth=1
	v_and_b32_e32 v41, 0xffff, v40
	v_or_b32_e32 v42, 0x10000, v40
	s_delay_alu instid0(VALU_DEP_2) | instskip(NEXT) | instid1(VALU_DEP_1)
	v_cmp_eq_u32_e64 s0, 0, v41
	v_cndmask_b32_e64 v41, v42, v40, s0
	s_branch .LBB12_104
.LBB12_113:
	s_or_b32 exec_lo, exec_lo, s5
	ds_bpermute_b32 v26, v39, v27
	s_and_saveexec_b32 s5, vcc_lo
	s_cbranch_execz .LBB12_133
; %bb.114:
	v_or3_b32 v25, v46, v47, 4
	v_cmp_gt_i32_e64 s1, s17, v33
	s_delay_alu instid0(VALU_DEP_2) | instskip(NEXT) | instid1(VALU_DEP_1)
	v_cmp_gt_i32_e64 s0, s16, v25
	s_and_b32 s0, s0, s1
	s_delay_alu instid0(SALU_CYCLE_1)
	s_and_b32 exec_lo, exec_lo, s0
	s_cbranch_execz .LBB12_133
; %bb.115:
	s_waitcnt lgkmcnt(1)
	v_and_b32_e32 v35, 0x7f800000, v27
	s_delay_alu instid0(VALU_DEP_1) | instskip(NEXT) | instid1(VALU_DEP_1)
	v_cmp_ne_u32_e64 s0, 0x7f800000, v35
                                        ; implicit-def: $vgpr35
	s_and_saveexec_b32 s1, s0
	s_delay_alu instid0(SALU_CYCLE_1)
	s_xor_b32 s0, exec_lo, s1
; %bb.116:
	v_bfe_u32 v35, v27, 16, 1
	s_delay_alu instid0(VALU_DEP_1)
	v_add3_u32 v35, v27, v35, 0x7fff
; %bb.117:
	s_and_not1_saveexec_b32 s1, s0
; %bb.118:
	v_and_b32_e32 v35, 0xffff, v27
	v_or_b32_e32 v36, 0x10000, v27
	s_delay_alu instid0(VALU_DEP_2) | instskip(NEXT) | instid1(VALU_DEP_1)
	v_cmp_eq_u32_e64 s0, 0, v35
	v_cndmask_b32_e64 v35, v36, v27, s0
; %bb.119:
	s_or_b32 exec_lo, exec_lo, s1
	s_waitcnt lgkmcnt(0)
	v_and_b32_e32 v27, 0x7f800000, v26
                                        ; implicit-def: $vgpr37
	s_delay_alu instid0(VALU_DEP_1) | instskip(NEXT) | instid1(VALU_DEP_1)
	v_cmp_ne_u32_e64 s0, 0x7f800000, v27
	s_and_saveexec_b32 s1, s0
	s_delay_alu instid0(SALU_CYCLE_1)
	s_xor_b32 s0, exec_lo, s1
; %bb.120:
	v_bfe_u32 v27, v26, 16, 1
	s_delay_alu instid0(VALU_DEP_1)
	v_add3_u32 v37, v26, v27, 0x7fff
                                        ; implicit-def: $vgpr26
; %bb.121:
	s_and_not1_saveexec_b32 s1, s0
; %bb.122:
	v_and_b32_e32 v27, 0xffff, v26
	v_or_b32_e32 v36, 0x10000, v26
	s_delay_alu instid0(VALU_DEP_2) | instskip(NEXT) | instid1(VALU_DEP_1)
	v_cmp_eq_u32_e64 s0, 0, v27
	v_cndmask_b32_e64 v37, v36, v26, s0
; %bb.123:
	s_or_b32 exec_lo, exec_lo, s1
	v_mul_lo_u32 v25, v25, s17
	v_lshlrev_b64 v[40:41], 1, v[33:34]
	v_and_b32_e32 v27, 0xffff0000, v35
	v_and_b32_e32 v37, 0xffff0000, v37
	s_mov_b32 s1, 0
	s_delay_alu instid0(VALU_DEP_4) | instskip(NEXT) | instid1(VALU_DEP_1)
	v_ashrrev_i32_e32 v26, 31, v25
	v_lshlrev_b64 v[25:26], 1, v[25:26]
	s_delay_alu instid0(VALU_DEP_1) | instskip(NEXT) | instid1(VALU_DEP_1)
	v_add_co_u32 v25, s0, s2, v25
	v_add_co_ci_u32_e64 v26, s0, s3, v26, s0
	s_delay_alu instid0(VALU_DEP_2) | instskip(NEXT) | instid1(VALU_DEP_1)
	v_add_co_u32 v25, s0, v25, v40
	v_add_co_ci_u32_e64 v26, s0, v26, v41, s0
	global_load_b32 v36, v[25:26], off
	s_branch .LBB12_125
.LBB12_124:                             ;   in Loop: Header=BB12_125 Depth=1
	s_or_b32 exec_lo, exec_lo, s6
	v_lshrrev_b32_e32 v35, 16, v35
	s_delay_alu instid0(VALU_DEP_1) | instskip(SKIP_4) | instid1(VALU_DEP_2)
	v_and_or_b32 v35, 0xffff0000, v40, v35
	global_atomic_cmpswap_b32 v35, v[25:26], v[35:36], off glc
	s_waitcnt vmcnt(0)
	v_cmp_eq_u32_e64 s0, v35, v36
	v_mov_b32_e32 v36, v35
	s_or_b32 s1, s0, s1
	s_delay_alu instid0(SALU_CYCLE_1)
	s_and_not1_b32 exec_lo, exec_lo, s1
	s_cbranch_execz .LBB12_133
.LBB12_125:                             ; =>This Inner Loop Header: Depth=1
	s_waitcnt vmcnt(0)
	v_lshlrev_b32_e32 v35, 16, v36
	s_delay_alu instid0(VALU_DEP_1) | instskip(NEXT) | instid1(VALU_DEP_1)
	v_add_f32_e32 v38, v27, v35
	v_and_b32_e32 v35, 0x7f800000, v38
	s_delay_alu instid0(VALU_DEP_1) | instskip(NEXT) | instid1(VALU_DEP_1)
	v_cmp_ne_u32_e64 s0, 0x7f800000, v35
                                        ; implicit-def: $vgpr35
	s_and_saveexec_b32 s6, s0
	s_delay_alu instid0(SALU_CYCLE_1)
	s_xor_b32 s0, exec_lo, s6
; %bb.126:                              ;   in Loop: Header=BB12_125 Depth=1
	v_bfe_u32 v35, v38, 16, 1
	s_delay_alu instid0(VALU_DEP_1)
	v_add3_u32 v35, v38, v35, 0x7fff
                                        ; implicit-def: $vgpr38
; %bb.127:                              ;   in Loop: Header=BB12_125 Depth=1
	s_and_not1_saveexec_b32 s6, s0
; %bb.128:                              ;   in Loop: Header=BB12_125 Depth=1
	v_and_b32_e32 v35, 0xffff, v38
	v_or_b32_e32 v40, 0x10000, v38
	s_delay_alu instid0(VALU_DEP_2) | instskip(NEXT) | instid1(VALU_DEP_1)
	v_cmp_eq_u32_e64 s0, 0, v35
	v_cndmask_b32_e64 v35, v40, v38, s0
; %bb.129:                              ;   in Loop: Header=BB12_125 Depth=1
	s_or_b32 exec_lo, exec_lo, s6
	v_and_b32_e32 v38, 0xffff0000, v36
	s_delay_alu instid0(VALU_DEP_1) | instskip(NEXT) | instid1(VALU_DEP_1)
	v_add_f32_e32 v38, v37, v38
	v_and_b32_e32 v40, 0x7f800000, v38
	s_delay_alu instid0(VALU_DEP_1) | instskip(NEXT) | instid1(VALU_DEP_1)
	v_cmp_ne_u32_e64 s0, 0x7f800000, v40
                                        ; implicit-def: $vgpr40
	s_and_saveexec_b32 s6, s0
	s_delay_alu instid0(SALU_CYCLE_1)
	s_xor_b32 s0, exec_lo, s6
; %bb.130:                              ;   in Loop: Header=BB12_125 Depth=1
	v_bfe_u32 v40, v38, 16, 1
	s_delay_alu instid0(VALU_DEP_1)
	v_add3_u32 v40, v38, v40, 0x7fff
                                        ; implicit-def: $vgpr38
; %bb.131:                              ;   in Loop: Header=BB12_125 Depth=1
	s_and_not1_saveexec_b32 s6, s0
	s_cbranch_execz .LBB12_124
; %bb.132:                              ;   in Loop: Header=BB12_125 Depth=1
	v_and_b32_e32 v40, 0xffff, v38
	v_or_b32_e32 v41, 0x10000, v38
	s_delay_alu instid0(VALU_DEP_2) | instskip(NEXT) | instid1(VALU_DEP_1)
	v_cmp_eq_u32_e64 s0, 0, v40
	v_cndmask_b32_e64 v40, v41, v38, s0
	s_branch .LBB12_124
.LBB12_133:
	s_or_b32 exec_lo, exec_lo, s5
	s_waitcnt lgkmcnt(0)
	ds_bpermute_b32 v26, v39, v28
	s_and_saveexec_b32 s5, vcc_lo
	s_cbranch_execz .LBB12_153
; %bb.134:
	v_or3_b32 v25, v46, v47, 6
	v_cmp_gt_i32_e64 s1, s17, v33
	s_delay_alu instid0(VALU_DEP_2) | instskip(NEXT) | instid1(VALU_DEP_1)
	v_cmp_gt_i32_e64 s0, s16, v25
	s_and_b32 s0, s0, s1
	s_delay_alu instid0(SALU_CYCLE_1)
	s_and_b32 exec_lo, exec_lo, s0
	s_cbranch_execz .LBB12_153
; %bb.135:
	v_and_b32_e32 v27, 0x7f800000, v28
	s_delay_alu instid0(VALU_DEP_1) | instskip(NEXT) | instid1(VALU_DEP_1)
	v_cmp_ne_u32_e64 s0, 0x7f800000, v27
                                        ; implicit-def: $vgpr27
	s_and_saveexec_b32 s1, s0
	s_delay_alu instid0(SALU_CYCLE_1)
	s_xor_b32 s0, exec_lo, s1
; %bb.136:
	v_bfe_u32 v27, v28, 16, 1
	s_delay_alu instid0(VALU_DEP_1)
	v_add3_u32 v27, v28, v27, 0x7fff
; %bb.137:
	s_and_not1_saveexec_b32 s1, s0
; %bb.138:
	v_and_b32_e32 v27, 0xffff, v28
	v_or_b32_e32 v35, 0x10000, v28
	s_delay_alu instid0(VALU_DEP_2) | instskip(NEXT) | instid1(VALU_DEP_1)
	v_cmp_eq_u32_e64 s0, 0, v27
	v_cndmask_b32_e64 v27, v35, v28, s0
; %bb.139:
	s_or_b32 exec_lo, exec_lo, s1
	s_waitcnt lgkmcnt(0)
	v_and_b32_e32 v28, 0x7f800000, v26
                                        ; implicit-def: $vgpr36
	s_delay_alu instid0(VALU_DEP_1) | instskip(NEXT) | instid1(VALU_DEP_1)
	v_cmp_ne_u32_e64 s0, 0x7f800000, v28
	s_and_saveexec_b32 s1, s0
	s_delay_alu instid0(SALU_CYCLE_1)
	s_xor_b32 s0, exec_lo, s1
; %bb.140:
	v_bfe_u32 v28, v26, 16, 1
	s_delay_alu instid0(VALU_DEP_1)
	v_add3_u32 v36, v26, v28, 0x7fff
                                        ; implicit-def: $vgpr26
; %bb.141:
	s_and_not1_saveexec_b32 s1, s0
; %bb.142:
	v_and_b32_e32 v28, 0xffff, v26
	v_or_b32_e32 v35, 0x10000, v26
	s_delay_alu instid0(VALU_DEP_2) | instskip(NEXT) | instid1(VALU_DEP_1)
	v_cmp_eq_u32_e64 s0, 0, v28
	v_cndmask_b32_e64 v36, v35, v26, s0
; %bb.143:
	s_or_b32 exec_lo, exec_lo, s1
	v_mul_lo_u32 v25, v25, s17
	v_lshlrev_b64 v[37:38], 1, v[33:34]
	v_and_b32_e32 v35, 0xffff0000, v27
	v_and_b32_e32 v36, 0xffff0000, v36
	s_mov_b32 s1, 0
	s_delay_alu instid0(VALU_DEP_4) | instskip(NEXT) | instid1(VALU_DEP_1)
	v_ashrrev_i32_e32 v26, 31, v25
	v_lshlrev_b64 v[25:26], 1, v[25:26]
	s_delay_alu instid0(VALU_DEP_1) | instskip(NEXT) | instid1(VALU_DEP_1)
	v_add_co_u32 v25, s0, s2, v25
	v_add_co_ci_u32_e64 v26, s0, s3, v26, s0
	s_delay_alu instid0(VALU_DEP_2) | instskip(NEXT) | instid1(VALU_DEP_1)
	v_add_co_u32 v25, s0, v25, v37
	v_add_co_ci_u32_e64 v26, s0, v26, v38, s0
	global_load_b32 v28, v[25:26], off
	s_branch .LBB12_145
.LBB12_144:                             ;   in Loop: Header=BB12_145 Depth=1
	s_or_b32 exec_lo, exec_lo, s6
	v_lshrrev_b32_e32 v27, 16, v27
	s_delay_alu instid0(VALU_DEP_1) | instskip(SKIP_4) | instid1(VALU_DEP_2)
	v_and_or_b32 v27, 0xffff0000, v38, v27
	global_atomic_cmpswap_b32 v27, v[25:26], v[27:28], off glc
	s_waitcnt vmcnt(0)
	v_cmp_eq_u32_e64 s0, v27, v28
	v_mov_b32_e32 v28, v27
	s_or_b32 s1, s0, s1
	s_delay_alu instid0(SALU_CYCLE_1)
	s_and_not1_b32 exec_lo, exec_lo, s1
	s_cbranch_execz .LBB12_153
.LBB12_145:                             ; =>This Inner Loop Header: Depth=1
	s_waitcnt vmcnt(0)
	v_lshlrev_b32_e32 v27, 16, v28
	s_delay_alu instid0(VALU_DEP_1) | instskip(NEXT) | instid1(VALU_DEP_1)
	v_add_f32_e32 v37, v35, v27
	v_and_b32_e32 v27, 0x7f800000, v37
	s_delay_alu instid0(VALU_DEP_1) | instskip(NEXT) | instid1(VALU_DEP_1)
	v_cmp_ne_u32_e64 s0, 0x7f800000, v27
                                        ; implicit-def: $vgpr27
	s_and_saveexec_b32 s6, s0
	s_delay_alu instid0(SALU_CYCLE_1)
	s_xor_b32 s0, exec_lo, s6
; %bb.146:                              ;   in Loop: Header=BB12_145 Depth=1
	v_bfe_u32 v27, v37, 16, 1
	s_delay_alu instid0(VALU_DEP_1)
	v_add3_u32 v27, v37, v27, 0x7fff
                                        ; implicit-def: $vgpr37
; %bb.147:                              ;   in Loop: Header=BB12_145 Depth=1
	s_and_not1_saveexec_b32 s6, s0
; %bb.148:                              ;   in Loop: Header=BB12_145 Depth=1
	v_and_b32_e32 v27, 0xffff, v37
	v_or_b32_e32 v38, 0x10000, v37
	s_delay_alu instid0(VALU_DEP_2) | instskip(NEXT) | instid1(VALU_DEP_1)
	v_cmp_eq_u32_e64 s0, 0, v27
	v_cndmask_b32_e64 v27, v38, v37, s0
; %bb.149:                              ;   in Loop: Header=BB12_145 Depth=1
	s_or_b32 exec_lo, exec_lo, s6
	v_and_b32_e32 v37, 0xffff0000, v28
	s_delay_alu instid0(VALU_DEP_1) | instskip(NEXT) | instid1(VALU_DEP_1)
	v_add_f32_e32 v37, v36, v37
	v_and_b32_e32 v38, 0x7f800000, v37
	s_delay_alu instid0(VALU_DEP_1) | instskip(NEXT) | instid1(VALU_DEP_1)
	v_cmp_ne_u32_e64 s0, 0x7f800000, v38
                                        ; implicit-def: $vgpr38
	s_and_saveexec_b32 s6, s0
	s_delay_alu instid0(SALU_CYCLE_1)
	s_xor_b32 s0, exec_lo, s6
; %bb.150:                              ;   in Loop: Header=BB12_145 Depth=1
	v_bfe_u32 v38, v37, 16, 1
	s_delay_alu instid0(VALU_DEP_1)
	v_add3_u32 v38, v37, v38, 0x7fff
                                        ; implicit-def: $vgpr37
; %bb.151:                              ;   in Loop: Header=BB12_145 Depth=1
	s_and_not1_saveexec_b32 s6, s0
	s_cbranch_execz .LBB12_144
; %bb.152:                              ;   in Loop: Header=BB12_145 Depth=1
	v_and_b32_e32 v38, 0xffff, v37
	v_or_b32_e32 v40, 0x10000, v37
	s_delay_alu instid0(VALU_DEP_2) | instskip(NEXT) | instid1(VALU_DEP_1)
	v_cmp_eq_u32_e64 s0, 0, v38
	v_cndmask_b32_e64 v38, v40, v37, s0
	s_branch .LBB12_144
.LBB12_153:
	s_or_b32 exec_lo, exec_lo, s5
	s_waitcnt lgkmcnt(0)
	ds_bpermute_b32 v26, v39, v29
	s_and_saveexec_b32 s5, vcc_lo
	s_cbranch_execz .LBB12_173
; %bb.154:
	v_or3_b32 v25, v46, v47, 8
	v_cmp_gt_i32_e64 s1, s17, v33
	s_delay_alu instid0(VALU_DEP_2) | instskip(NEXT) | instid1(VALU_DEP_1)
	v_cmp_gt_i32_e64 s0, s16, v25
	s_and_b32 s0, s0, s1
	s_delay_alu instid0(SALU_CYCLE_1)
	s_and_b32 exec_lo, exec_lo, s0
	s_cbranch_execz .LBB12_173
; %bb.155:
	v_and_b32_e32 v27, 0x7f800000, v29
	s_delay_alu instid0(VALU_DEP_1) | instskip(NEXT) | instid1(VALU_DEP_1)
	v_cmp_ne_u32_e64 s0, 0x7f800000, v27
                                        ; implicit-def: $vgpr27
	s_and_saveexec_b32 s1, s0
	s_delay_alu instid0(SALU_CYCLE_1)
	s_xor_b32 s0, exec_lo, s1
; %bb.156:
	v_bfe_u32 v27, v29, 16, 1
	s_delay_alu instid0(VALU_DEP_1)
	v_add3_u32 v27, v29, v27, 0x7fff
; %bb.157:
	s_and_not1_saveexec_b32 s1, s0
; %bb.158:
	v_and_b32_e32 v27, 0xffff, v29
	v_or_b32_e32 v28, 0x10000, v29
	s_delay_alu instid0(VALU_DEP_2) | instskip(NEXT) | instid1(VALU_DEP_1)
	v_cmp_eq_u32_e64 s0, 0, v27
	v_cndmask_b32_e64 v27, v28, v29, s0
; %bb.159:
	s_or_b32 exec_lo, exec_lo, s1
	s_waitcnt lgkmcnt(0)
	v_and_b32_e32 v28, 0x7f800000, v26
                                        ; implicit-def: $vgpr35
	s_delay_alu instid0(VALU_DEP_1) | instskip(NEXT) | instid1(VALU_DEP_1)
	v_cmp_ne_u32_e64 s0, 0x7f800000, v28
	s_and_saveexec_b32 s1, s0
	s_delay_alu instid0(SALU_CYCLE_1)
	s_xor_b32 s0, exec_lo, s1
; %bb.160:
	v_bfe_u32 v28, v26, 16, 1
	s_delay_alu instid0(VALU_DEP_1)
	v_add3_u32 v35, v26, v28, 0x7fff
                                        ; implicit-def: $vgpr26
; %bb.161:
	s_and_not1_saveexec_b32 s1, s0
; %bb.162:
	v_and_b32_e32 v28, 0xffff, v26
	v_or_b32_e32 v29, 0x10000, v26
	s_delay_alu instid0(VALU_DEP_2) | instskip(NEXT) | instid1(VALU_DEP_1)
	v_cmp_eq_u32_e64 s0, 0, v28
	v_cndmask_b32_e64 v35, v29, v26, s0
; %bb.163:
	s_or_b32 exec_lo, exec_lo, s1
	v_mul_lo_u32 v25, v25, s17
	v_lshlrev_b64 v[28:29], 1, v[33:34]
	s_delay_alu instid0(VALU_DEP_3) | instskip(SKIP_1) | instid1(VALU_DEP_3)
	v_and_b32_e32 v35, 0xffff0000, v35
	s_mov_b32 s1, 0
	v_ashrrev_i32_e32 v26, 31, v25
	s_delay_alu instid0(VALU_DEP_1) | instskip(NEXT) | instid1(VALU_DEP_1)
	v_lshlrev_b64 v[25:26], 1, v[25:26]
	v_add_co_u32 v25, s0, s2, v25
	s_delay_alu instid0(VALU_DEP_1) | instskip(NEXT) | instid1(VALU_DEP_2)
	v_add_co_ci_u32_e64 v26, s0, s3, v26, s0
	v_add_co_u32 v25, s0, v25, v28
	s_delay_alu instid0(VALU_DEP_1)
	v_add_co_ci_u32_e64 v26, s0, v26, v29, s0
	v_and_b32_e32 v29, 0xffff0000, v27
	global_load_b32 v28, v[25:26], off
	s_branch .LBB12_165
.LBB12_164:                             ;   in Loop: Header=BB12_165 Depth=1
	s_or_b32 exec_lo, exec_lo, s6
	v_lshrrev_b32_e32 v27, 16, v27
	s_delay_alu instid0(VALU_DEP_1) | instskip(SKIP_4) | instid1(VALU_DEP_2)
	v_and_or_b32 v27, 0xffff0000, v37, v27
	global_atomic_cmpswap_b32 v27, v[25:26], v[27:28], off glc
	s_waitcnt vmcnt(0)
	v_cmp_eq_u32_e64 s0, v27, v28
	v_mov_b32_e32 v28, v27
	s_or_b32 s1, s0, s1
	s_delay_alu instid0(SALU_CYCLE_1)
	s_and_not1_b32 exec_lo, exec_lo, s1
	s_cbranch_execz .LBB12_173
.LBB12_165:                             ; =>This Inner Loop Header: Depth=1
	s_waitcnt vmcnt(0)
	v_lshlrev_b32_e32 v27, 16, v28
	s_delay_alu instid0(VALU_DEP_1) | instskip(NEXT) | instid1(VALU_DEP_1)
	v_add_f32_e32 v36, v29, v27
	v_and_b32_e32 v27, 0x7f800000, v36
	s_delay_alu instid0(VALU_DEP_1) | instskip(NEXT) | instid1(VALU_DEP_1)
	v_cmp_ne_u32_e64 s0, 0x7f800000, v27
                                        ; implicit-def: $vgpr27
	s_and_saveexec_b32 s6, s0
	s_delay_alu instid0(SALU_CYCLE_1)
	s_xor_b32 s0, exec_lo, s6
; %bb.166:                              ;   in Loop: Header=BB12_165 Depth=1
	v_bfe_u32 v27, v36, 16, 1
	s_delay_alu instid0(VALU_DEP_1)
	v_add3_u32 v27, v36, v27, 0x7fff
                                        ; implicit-def: $vgpr36
; %bb.167:                              ;   in Loop: Header=BB12_165 Depth=1
	s_and_not1_saveexec_b32 s6, s0
; %bb.168:                              ;   in Loop: Header=BB12_165 Depth=1
	v_and_b32_e32 v27, 0xffff, v36
	v_or_b32_e32 v37, 0x10000, v36
	s_delay_alu instid0(VALU_DEP_2) | instskip(NEXT) | instid1(VALU_DEP_1)
	v_cmp_eq_u32_e64 s0, 0, v27
	v_cndmask_b32_e64 v27, v37, v36, s0
; %bb.169:                              ;   in Loop: Header=BB12_165 Depth=1
	s_or_b32 exec_lo, exec_lo, s6
	v_and_b32_e32 v36, 0xffff0000, v28
	s_delay_alu instid0(VALU_DEP_1) | instskip(NEXT) | instid1(VALU_DEP_1)
	v_add_f32_e32 v36, v35, v36
	v_and_b32_e32 v37, 0x7f800000, v36
	s_delay_alu instid0(VALU_DEP_1) | instskip(NEXT) | instid1(VALU_DEP_1)
	v_cmp_ne_u32_e64 s0, 0x7f800000, v37
                                        ; implicit-def: $vgpr37
	s_and_saveexec_b32 s6, s0
	s_delay_alu instid0(SALU_CYCLE_1)
	s_xor_b32 s0, exec_lo, s6
; %bb.170:                              ;   in Loop: Header=BB12_165 Depth=1
	v_bfe_u32 v37, v36, 16, 1
	s_delay_alu instid0(VALU_DEP_1)
	v_add3_u32 v37, v36, v37, 0x7fff
                                        ; implicit-def: $vgpr36
; %bb.171:                              ;   in Loop: Header=BB12_165 Depth=1
	s_and_not1_saveexec_b32 s6, s0
	s_cbranch_execz .LBB12_164
; %bb.172:                              ;   in Loop: Header=BB12_165 Depth=1
	v_and_b32_e32 v37, 0xffff, v36
	v_or_b32_e32 v38, 0x10000, v36
	s_delay_alu instid0(VALU_DEP_2) | instskip(NEXT) | instid1(VALU_DEP_1)
	v_cmp_eq_u32_e64 s0, 0, v37
	v_cndmask_b32_e64 v37, v38, v36, s0
	s_branch .LBB12_164
.LBB12_173:
	s_or_b32 exec_lo, exec_lo, s5
	s_waitcnt lgkmcnt(0)
	ds_bpermute_b32 v26, v39, v30
	s_and_saveexec_b32 s5, vcc_lo
	s_cbranch_execz .LBB12_193
; %bb.174:
	v_or3_b32 v25, v46, v47, 10
	v_cmp_gt_i32_e64 s1, s17, v33
	s_delay_alu instid0(VALU_DEP_2) | instskip(NEXT) | instid1(VALU_DEP_1)
	v_cmp_gt_i32_e64 s0, s16, v25
	s_and_b32 s0, s0, s1
	s_delay_alu instid0(SALU_CYCLE_1)
	s_and_b32 exec_lo, exec_lo, s0
	s_cbranch_execz .LBB12_193
; %bb.175:
	v_and_b32_e32 v27, 0x7f800000, v30
	s_delay_alu instid0(VALU_DEP_1) | instskip(NEXT) | instid1(VALU_DEP_1)
	v_cmp_ne_u32_e64 s0, 0x7f800000, v27
                                        ; implicit-def: $vgpr27
	s_and_saveexec_b32 s1, s0
	s_delay_alu instid0(SALU_CYCLE_1)
	s_xor_b32 s0, exec_lo, s1
; %bb.176:
	v_bfe_u32 v27, v30, 16, 1
	s_delay_alu instid0(VALU_DEP_1)
	v_add3_u32 v27, v30, v27, 0x7fff
; %bb.177:
	s_and_not1_saveexec_b32 s1, s0
; %bb.178:
	v_and_b32_e32 v27, 0xffff, v30
	v_or_b32_e32 v28, 0x10000, v30
	s_delay_alu instid0(VALU_DEP_2) | instskip(NEXT) | instid1(VALU_DEP_1)
	v_cmp_eq_u32_e64 s0, 0, v27
	v_cndmask_b32_e64 v27, v28, v30, s0
; %bb.179:
	s_or_b32 exec_lo, exec_lo, s1
	s_waitcnt lgkmcnt(0)
	v_and_b32_e32 v28, 0x7f800000, v26
                                        ; implicit-def: $vgpr30
	s_delay_alu instid0(VALU_DEP_1) | instskip(NEXT) | instid1(VALU_DEP_1)
	v_cmp_ne_u32_e64 s0, 0x7f800000, v28
	s_and_saveexec_b32 s1, s0
	s_delay_alu instid0(SALU_CYCLE_1)
	s_xor_b32 s0, exec_lo, s1
; %bb.180:
	v_bfe_u32 v28, v26, 16, 1
	s_delay_alu instid0(VALU_DEP_1)
	v_add3_u32 v30, v26, v28, 0x7fff
                                        ; implicit-def: $vgpr26
; %bb.181:
	s_and_not1_saveexec_b32 s1, s0
; %bb.182:
	v_and_b32_e32 v28, 0xffff, v26
	v_or_b32_e32 v29, 0x10000, v26
	s_delay_alu instid0(VALU_DEP_2) | instskip(NEXT) | instid1(VALU_DEP_1)
	v_cmp_eq_u32_e64 s0, 0, v28
	v_cndmask_b32_e64 v30, v29, v26, s0
; %bb.183:
	s_or_b32 exec_lo, exec_lo, s1
	v_mul_lo_u32 v25, v25, s17
	v_lshlrev_b64 v[28:29], 1, v[33:34]
	s_delay_alu instid0(VALU_DEP_3) | instskip(SKIP_1) | instid1(VALU_DEP_3)
	v_and_b32_e32 v30, 0xffff0000, v30
	s_mov_b32 s1, 0
	v_ashrrev_i32_e32 v26, 31, v25
	s_delay_alu instid0(VALU_DEP_1) | instskip(NEXT) | instid1(VALU_DEP_1)
	v_lshlrev_b64 v[25:26], 1, v[25:26]
	v_add_co_u32 v25, s0, s2, v25
	s_delay_alu instid0(VALU_DEP_1) | instskip(NEXT) | instid1(VALU_DEP_2)
	v_add_co_ci_u32_e64 v26, s0, s3, v26, s0
	v_add_co_u32 v25, s0, v25, v28
	s_delay_alu instid0(VALU_DEP_1)
	v_add_co_ci_u32_e64 v26, s0, v26, v29, s0
	v_and_b32_e32 v29, 0xffff0000, v27
	global_load_b32 v28, v[25:26], off
	s_branch .LBB12_185
.LBB12_184:                             ;   in Loop: Header=BB12_185 Depth=1
	s_or_b32 exec_lo, exec_lo, s6
	v_lshrrev_b32_e32 v27, 16, v27
	s_delay_alu instid0(VALU_DEP_1) | instskip(SKIP_4) | instid1(VALU_DEP_2)
	v_and_or_b32 v27, 0xffff0000, v36, v27
	global_atomic_cmpswap_b32 v27, v[25:26], v[27:28], off glc
	s_waitcnt vmcnt(0)
	v_cmp_eq_u32_e64 s0, v27, v28
	v_mov_b32_e32 v28, v27
	s_or_b32 s1, s0, s1
	s_delay_alu instid0(SALU_CYCLE_1)
	s_and_not1_b32 exec_lo, exec_lo, s1
	s_cbranch_execz .LBB12_193
.LBB12_185:                             ; =>This Inner Loop Header: Depth=1
	s_waitcnt vmcnt(0)
	v_lshlrev_b32_e32 v27, 16, v28
	s_delay_alu instid0(VALU_DEP_1) | instskip(NEXT) | instid1(VALU_DEP_1)
	v_add_f32_e32 v35, v29, v27
	v_and_b32_e32 v27, 0x7f800000, v35
	s_delay_alu instid0(VALU_DEP_1) | instskip(NEXT) | instid1(VALU_DEP_1)
	v_cmp_ne_u32_e64 s0, 0x7f800000, v27
                                        ; implicit-def: $vgpr27
	s_and_saveexec_b32 s6, s0
	s_delay_alu instid0(SALU_CYCLE_1)
	s_xor_b32 s0, exec_lo, s6
; %bb.186:                              ;   in Loop: Header=BB12_185 Depth=1
	v_bfe_u32 v27, v35, 16, 1
	s_delay_alu instid0(VALU_DEP_1)
	v_add3_u32 v27, v35, v27, 0x7fff
                                        ; implicit-def: $vgpr35
; %bb.187:                              ;   in Loop: Header=BB12_185 Depth=1
	s_and_not1_saveexec_b32 s6, s0
; %bb.188:                              ;   in Loop: Header=BB12_185 Depth=1
	v_and_b32_e32 v27, 0xffff, v35
	v_or_b32_e32 v36, 0x10000, v35
	s_delay_alu instid0(VALU_DEP_2) | instskip(NEXT) | instid1(VALU_DEP_1)
	v_cmp_eq_u32_e64 s0, 0, v27
	v_cndmask_b32_e64 v27, v36, v35, s0
; %bb.189:                              ;   in Loop: Header=BB12_185 Depth=1
	s_or_b32 exec_lo, exec_lo, s6
	v_and_b32_e32 v35, 0xffff0000, v28
	s_delay_alu instid0(VALU_DEP_1) | instskip(NEXT) | instid1(VALU_DEP_1)
	v_add_f32_e32 v35, v30, v35
	v_and_b32_e32 v36, 0x7f800000, v35
	s_delay_alu instid0(VALU_DEP_1) | instskip(NEXT) | instid1(VALU_DEP_1)
	v_cmp_ne_u32_e64 s0, 0x7f800000, v36
                                        ; implicit-def: $vgpr36
	s_and_saveexec_b32 s6, s0
	s_delay_alu instid0(SALU_CYCLE_1)
	s_xor_b32 s0, exec_lo, s6
; %bb.190:                              ;   in Loop: Header=BB12_185 Depth=1
	v_bfe_u32 v36, v35, 16, 1
	s_delay_alu instid0(VALU_DEP_1)
	v_add3_u32 v36, v35, v36, 0x7fff
                                        ; implicit-def: $vgpr35
; %bb.191:                              ;   in Loop: Header=BB12_185 Depth=1
	s_and_not1_saveexec_b32 s6, s0
	s_cbranch_execz .LBB12_184
; %bb.192:                              ;   in Loop: Header=BB12_185 Depth=1
	v_and_b32_e32 v36, 0xffff, v35
	v_or_b32_e32 v37, 0x10000, v35
	s_delay_alu instid0(VALU_DEP_2) | instskip(NEXT) | instid1(VALU_DEP_1)
	v_cmp_eq_u32_e64 s0, 0, v36
	v_cndmask_b32_e64 v36, v37, v35, s0
	s_branch .LBB12_184
.LBB12_193:
	s_or_b32 exec_lo, exec_lo, s5
	s_waitcnt lgkmcnt(0)
	ds_bpermute_b32 v26, v39, v31
	s_and_saveexec_b32 s5, vcc_lo
	s_cbranch_execz .LBB12_213
; %bb.194:
	v_or3_b32 v25, v46, v47, 12
	v_cmp_gt_i32_e64 s1, s17, v33
	s_delay_alu instid0(VALU_DEP_2) | instskip(NEXT) | instid1(VALU_DEP_1)
	v_cmp_gt_i32_e64 s0, s16, v25
	s_and_b32 s0, s0, s1
	s_delay_alu instid0(SALU_CYCLE_1)
	s_and_b32 exec_lo, exec_lo, s0
	s_cbranch_execz .LBB12_213
; %bb.195:
	v_and_b32_e32 v27, 0x7f800000, v31
	s_delay_alu instid0(VALU_DEP_1) | instskip(NEXT) | instid1(VALU_DEP_1)
	v_cmp_ne_u32_e64 s0, 0x7f800000, v27
                                        ; implicit-def: $vgpr27
	s_and_saveexec_b32 s1, s0
	s_delay_alu instid0(SALU_CYCLE_1)
	s_xor_b32 s0, exec_lo, s1
; %bb.196:
	v_bfe_u32 v27, v31, 16, 1
	s_delay_alu instid0(VALU_DEP_1)
	v_add3_u32 v27, v31, v27, 0x7fff
; %bb.197:
	s_and_not1_saveexec_b32 s1, s0
; %bb.198:
	v_and_b32_e32 v27, 0xffff, v31
	v_or_b32_e32 v28, 0x10000, v31
	s_delay_alu instid0(VALU_DEP_2) | instskip(NEXT) | instid1(VALU_DEP_1)
	v_cmp_eq_u32_e64 s0, 0, v27
	v_cndmask_b32_e64 v27, v28, v31, s0
; %bb.199:
	s_or_b32 exec_lo, exec_lo, s1
	s_waitcnt lgkmcnt(0)
	v_and_b32_e32 v28, 0x7f800000, v26
                                        ; implicit-def: $vgpr30
	s_delay_alu instid0(VALU_DEP_1) | instskip(NEXT) | instid1(VALU_DEP_1)
	v_cmp_ne_u32_e64 s0, 0x7f800000, v28
	s_and_saveexec_b32 s1, s0
	s_delay_alu instid0(SALU_CYCLE_1)
	s_xor_b32 s0, exec_lo, s1
; %bb.200:
	v_bfe_u32 v28, v26, 16, 1
	s_delay_alu instid0(VALU_DEP_1)
	v_add3_u32 v30, v26, v28, 0x7fff
                                        ; implicit-def: $vgpr26
; %bb.201:
	s_and_not1_saveexec_b32 s1, s0
; %bb.202:
	v_and_b32_e32 v28, 0xffff, v26
	v_or_b32_e32 v29, 0x10000, v26
	s_delay_alu instid0(VALU_DEP_2) | instskip(NEXT) | instid1(VALU_DEP_1)
	v_cmp_eq_u32_e64 s0, 0, v28
	v_cndmask_b32_e64 v30, v29, v26, s0
; %bb.203:
	s_or_b32 exec_lo, exec_lo, s1
	v_mul_lo_u32 v25, v25, s17
	v_lshlrev_b64 v[28:29], 1, v[33:34]
	s_delay_alu instid0(VALU_DEP_3) | instskip(SKIP_1) | instid1(VALU_DEP_3)
	v_and_b32_e32 v30, 0xffff0000, v30
	s_mov_b32 s1, 0
	v_ashrrev_i32_e32 v26, 31, v25
	s_delay_alu instid0(VALU_DEP_1) | instskip(NEXT) | instid1(VALU_DEP_1)
	v_lshlrev_b64 v[25:26], 1, v[25:26]
	v_add_co_u32 v25, s0, s2, v25
	s_delay_alu instid0(VALU_DEP_1) | instskip(NEXT) | instid1(VALU_DEP_2)
	v_add_co_ci_u32_e64 v26, s0, s3, v26, s0
	v_add_co_u32 v25, s0, v25, v28
	s_delay_alu instid0(VALU_DEP_1)
	v_add_co_ci_u32_e64 v26, s0, v26, v29, s0
	v_and_b32_e32 v29, 0xffff0000, v27
	global_load_b32 v28, v[25:26], off
	s_branch .LBB12_205
.LBB12_204:                             ;   in Loop: Header=BB12_205 Depth=1
	s_or_b32 exec_lo, exec_lo, s6
	v_lshrrev_b32_e32 v27, 16, v27
	s_delay_alu instid0(VALU_DEP_1) | instskip(SKIP_4) | instid1(VALU_DEP_2)
	v_and_or_b32 v27, 0xffff0000, v35, v27
	global_atomic_cmpswap_b32 v27, v[25:26], v[27:28], off glc
	s_waitcnt vmcnt(0)
	v_cmp_eq_u32_e64 s0, v27, v28
	v_mov_b32_e32 v28, v27
	s_or_b32 s1, s0, s1
	s_delay_alu instid0(SALU_CYCLE_1)
	s_and_not1_b32 exec_lo, exec_lo, s1
	s_cbranch_execz .LBB12_213
.LBB12_205:                             ; =>This Inner Loop Header: Depth=1
	s_waitcnt vmcnt(0)
	v_lshlrev_b32_e32 v27, 16, v28
	s_delay_alu instid0(VALU_DEP_1) | instskip(NEXT) | instid1(VALU_DEP_1)
	v_add_f32_e32 v31, v29, v27
	v_and_b32_e32 v27, 0x7f800000, v31
	s_delay_alu instid0(VALU_DEP_1) | instskip(NEXT) | instid1(VALU_DEP_1)
	v_cmp_ne_u32_e64 s0, 0x7f800000, v27
                                        ; implicit-def: $vgpr27
	s_and_saveexec_b32 s6, s0
	s_delay_alu instid0(SALU_CYCLE_1)
	s_xor_b32 s0, exec_lo, s6
; %bb.206:                              ;   in Loop: Header=BB12_205 Depth=1
	v_bfe_u32 v27, v31, 16, 1
	s_delay_alu instid0(VALU_DEP_1)
	v_add3_u32 v27, v31, v27, 0x7fff
                                        ; implicit-def: $vgpr31
; %bb.207:                              ;   in Loop: Header=BB12_205 Depth=1
	s_and_not1_saveexec_b32 s6, s0
; %bb.208:                              ;   in Loop: Header=BB12_205 Depth=1
	v_and_b32_e32 v27, 0xffff, v31
	v_or_b32_e32 v35, 0x10000, v31
	s_delay_alu instid0(VALU_DEP_2) | instskip(NEXT) | instid1(VALU_DEP_1)
	v_cmp_eq_u32_e64 s0, 0, v27
	v_cndmask_b32_e64 v27, v35, v31, s0
; %bb.209:                              ;   in Loop: Header=BB12_205 Depth=1
	s_or_b32 exec_lo, exec_lo, s6
	v_and_b32_e32 v31, 0xffff0000, v28
	s_delay_alu instid0(VALU_DEP_1) | instskip(NEXT) | instid1(VALU_DEP_1)
	v_add_f32_e32 v31, v30, v31
	v_and_b32_e32 v35, 0x7f800000, v31
	s_delay_alu instid0(VALU_DEP_1) | instskip(NEXT) | instid1(VALU_DEP_1)
	v_cmp_ne_u32_e64 s0, 0x7f800000, v35
                                        ; implicit-def: $vgpr35
	s_and_saveexec_b32 s6, s0
	s_delay_alu instid0(SALU_CYCLE_1)
	s_xor_b32 s0, exec_lo, s6
; %bb.210:                              ;   in Loop: Header=BB12_205 Depth=1
	v_bfe_u32 v35, v31, 16, 1
	s_delay_alu instid0(VALU_DEP_1)
	v_add3_u32 v35, v31, v35, 0x7fff
                                        ; implicit-def: $vgpr31
; %bb.211:                              ;   in Loop: Header=BB12_205 Depth=1
	s_and_not1_saveexec_b32 s6, s0
	s_cbranch_execz .LBB12_204
; %bb.212:                              ;   in Loop: Header=BB12_205 Depth=1
	v_and_b32_e32 v35, 0xffff, v31
	v_or_b32_e32 v36, 0x10000, v31
	s_delay_alu instid0(VALU_DEP_2) | instskip(NEXT) | instid1(VALU_DEP_1)
	v_cmp_eq_u32_e64 s0, 0, v35
	v_cndmask_b32_e64 v35, v36, v31, s0
	s_branch .LBB12_204
.LBB12_213:
	s_or_b32 exec_lo, exec_lo, s5
	ds_bpermute_b32 v36, v39, v32
	s_and_saveexec_b32 s1, vcc_lo
	s_cbranch_execz .LBB12_233
; %bb.214:
	v_or3_b32 v35, v46, v47, 14
	v_cmp_gt_i32_e64 s0, s17, v33
	s_delay_alu instid0(VALU_DEP_2) | instskip(NEXT) | instid1(VALU_DEP_2)
	v_cmp_gt_i32_e32 vcc_lo, s16, v35
	s_and_b32 s0, vcc_lo, s0
	s_delay_alu instid0(SALU_CYCLE_1)
	s_and_b32 exec_lo, exec_lo, s0
	s_cbranch_execz .LBB12_233
; %bb.215:
	v_and_b32_e32 v25, 0x7f800000, v32
	s_mov_b32 s0, exec_lo
                                        ; implicit-def: $vgpr37
	s_delay_alu instid0(VALU_DEP_1)
	v_cmpx_ne_u32_e32 0x7f800000, v25
	s_xor_b32 s0, exec_lo, s0
; %bb.216:
	v_bfe_u32 v25, v32, 16, 1
	s_delay_alu instid0(VALU_DEP_1)
	v_add3_u32 v37, v32, v25, 0x7fff
                                        ; implicit-def: $vgpr25_vgpr26_vgpr27_vgpr28_vgpr29_vgpr30_vgpr31_vgpr32
; %bb.217:
	s_and_not1_saveexec_b32 s0, s0
	s_cbranch_execz .LBB12_219
; %bb.218:
	v_and_b32_e32 v25, 0xffff, v32
	s_waitcnt lgkmcnt(1)
	v_or_b32_e32 v26, 0x10000, v32
	s_delay_alu instid0(VALU_DEP_2) | instskip(NEXT) | instid1(VALU_DEP_2)
	v_cmp_eq_u32_e32 vcc_lo, 0, v25
	v_cndmask_b32_e32 v37, v26, v32, vcc_lo
.LBB12_219:
	s_or_b32 exec_lo, exec_lo, s0
	s_waitcnt lgkmcnt(0)
	v_and_b32_e32 v25, 0x7f800000, v36
	s_mov_b32 s0, exec_lo
                                        ; implicit-def: $vgpr27
	s_delay_alu instid0(VALU_DEP_1)
	v_cmpx_ne_u32_e32 0x7f800000, v25
	s_xor_b32 s0, exec_lo, s0
; %bb.220:
	v_bfe_u32 v25, v36, 16, 1
	s_delay_alu instid0(VALU_DEP_1)
	v_add3_u32 v27, v36, v25, 0x7fff
                                        ; implicit-def: $vgpr36
; %bb.221:
	s_and_not1_saveexec_b32 s0, s0
; %bb.222:
	v_and_b32_e32 v25, 0xffff, v36
	v_or_b32_e32 v26, 0x10000, v36
	s_delay_alu instid0(VALU_DEP_2) | instskip(NEXT) | instid1(VALU_DEP_2)
	v_cmp_eq_u32_e32 vcc_lo, 0, v25
	v_cndmask_b32_e32 v27, v26, v36, vcc_lo
; %bb.223:
	s_or_b32 exec_lo, exec_lo, s0
	v_mul_lo_u32 v25, v35, s17
	v_lshlrev_b64 v[28:29], 1, v[33:34]
	s_delay_alu instid0(VALU_DEP_3) | instskip(SKIP_1) | instid1(VALU_DEP_3)
	v_and_b32_e32 v30, 0xffff0000, v27
	s_mov_b32 s0, 0
	v_ashrrev_i32_e32 v26, 31, v25
	s_delay_alu instid0(VALU_DEP_1) | instskip(NEXT) | instid1(VALU_DEP_1)
	v_lshlrev_b64 v[25:26], 1, v[25:26]
	v_add_co_u32 v25, vcc_lo, s2, v25
	s_delay_alu instid0(VALU_DEP_2) | instskip(NEXT) | instid1(VALU_DEP_2)
	v_add_co_ci_u32_e32 v26, vcc_lo, s3, v26, vcc_lo
	v_add_co_u32 v25, vcc_lo, v25, v28
	s_delay_alu instid0(VALU_DEP_2)
	v_add_co_ci_u32_e32 v26, vcc_lo, v26, v29, vcc_lo
	v_and_b32_e32 v29, 0xffff0000, v37
	global_load_b32 v28, v[25:26], off
	s_branch .LBB12_225
.LBB12_224:                             ;   in Loop: Header=BB12_225 Depth=1
	s_or_b32 exec_lo, exec_lo, s5
	v_lshrrev_b32_e32 v27, 16, v27
	s_delay_alu instid0(VALU_DEP_1)
	v_and_or_b32 v27, 0xffff0000, v32, v27
	global_atomic_cmpswap_b32 v27, v[25:26], v[27:28], off glc
	s_waitcnt vmcnt(0)
	v_cmp_eq_u32_e32 vcc_lo, v27, v28
	v_mov_b32_e32 v28, v27
	s_or_b32 s0, vcc_lo, s0
	s_delay_alu instid0(SALU_CYCLE_1)
	s_and_not1_b32 exec_lo, exec_lo, s0
	s_cbranch_execz .LBB12_233
.LBB12_225:                             ; =>This Inner Loop Header: Depth=1
	s_waitcnt vmcnt(0)
	v_lshlrev_b32_e32 v27, 16, v28
	s_delay_alu instid0(VALU_DEP_1) | instskip(NEXT) | instid1(VALU_DEP_1)
	v_add_f32_e32 v31, v29, v27
	v_and_b32_e32 v27, 0x7f800000, v31
	s_delay_alu instid0(VALU_DEP_1) | instskip(SKIP_1) | instid1(SALU_CYCLE_1)
	v_cmp_ne_u32_e32 vcc_lo, 0x7f800000, v27
                                        ; implicit-def: $vgpr27
	s_and_saveexec_b32 s5, vcc_lo
	s_xor_b32 s5, exec_lo, s5
; %bb.226:                              ;   in Loop: Header=BB12_225 Depth=1
	v_bfe_u32 v27, v31, 16, 1
	s_delay_alu instid0(VALU_DEP_1)
	v_add3_u32 v27, v31, v27, 0x7fff
                                        ; implicit-def: $vgpr31
; %bb.227:                              ;   in Loop: Header=BB12_225 Depth=1
	s_and_not1_saveexec_b32 s5, s5
; %bb.228:                              ;   in Loop: Header=BB12_225 Depth=1
	v_and_b32_e32 v27, 0xffff, v31
	v_or_b32_e32 v32, 0x10000, v31
	s_delay_alu instid0(VALU_DEP_2) | instskip(NEXT) | instid1(VALU_DEP_2)
	v_cmp_eq_u32_e32 vcc_lo, 0, v27
	v_cndmask_b32_e32 v27, v32, v31, vcc_lo
; %bb.229:                              ;   in Loop: Header=BB12_225 Depth=1
	s_or_b32 exec_lo, exec_lo, s5
	v_and_b32_e32 v31, 0xffff0000, v28
	s_delay_alu instid0(VALU_DEP_1) | instskip(NEXT) | instid1(VALU_DEP_1)
	v_add_f32_e32 v31, v30, v31
	v_and_b32_e32 v32, 0x7f800000, v31
	s_delay_alu instid0(VALU_DEP_1) | instskip(SKIP_1) | instid1(SALU_CYCLE_1)
	v_cmp_ne_u32_e32 vcc_lo, 0x7f800000, v32
                                        ; implicit-def: $vgpr32
	s_and_saveexec_b32 s5, vcc_lo
	s_xor_b32 s5, exec_lo, s5
; %bb.230:                              ;   in Loop: Header=BB12_225 Depth=1
	v_bfe_u32 v32, v31, 16, 1
	s_delay_alu instid0(VALU_DEP_1)
	v_add3_u32 v32, v31, v32, 0x7fff
                                        ; implicit-def: $vgpr31
; %bb.231:                              ;   in Loop: Header=BB12_225 Depth=1
	s_and_not1_saveexec_b32 s5, s5
	s_cbranch_execz .LBB12_224
; %bb.232:                              ;   in Loop: Header=BB12_225 Depth=1
	v_and_b32_e32 v32, 0xffff, v31
	v_or_b32_e32 v33, 0x10000, v31
	s_delay_alu instid0(VALU_DEP_2) | instskip(NEXT) | instid1(VALU_DEP_2)
	v_cmp_eq_u32_e32 vcc_lo, 0, v32
	v_cndmask_b32_e32 v32, v33, v31, vcc_lo
	s_branch .LBB12_224
.LBB12_233:
	s_or_b32 exec_lo, exec_lo, s1
	s_or_b32 s0, s14, 16
	s_and_b32 vcc_lo, exec_lo, s4
	s_mov_b32 s1, -1
	s_cbranch_vccz .LBB12_18
.LBB12_234:
	v_or_b32_e32 v25, s0, v45
	s_mov_b32 s1, exec_lo
	s_delay_alu instid0(VALU_DEP_1)
	v_cmpx_gt_i32_e64 s17, v25
	s_cbranch_execz .LBB12_283
; %bb.235:
	v_or_b32_e32 v25, v47, v46
	s_mov_b32 s5, exec_lo
	s_delay_alu instid0(VALU_DEP_1)
	v_cmpx_gt_i32_e64 s16, v25
	s_cbranch_execz .LBB12_241
; %bb.236:
	s_waitcnt lgkmcnt(1)
	v_and_b32_e32 v26, 0x7f800000, v17
	s_delay_alu instid0(VALU_DEP_1) | instskip(SKIP_1) | instid1(SALU_CYCLE_1)
	v_cmp_ne_u32_e32 vcc_lo, 0x7f800000, v26
                                        ; implicit-def: $vgpr26
	s_and_saveexec_b32 s6, vcc_lo
	s_xor_b32 s6, exec_lo, s6
; %bb.237:
	v_bfe_u32 v26, v17, 16, 1
	s_delay_alu instid0(VALU_DEP_1)
	v_add3_u32 v26, v17, v26, 0x7fff
; %bb.238:
	s_and_not1_saveexec_b32 s6, s6
; %bb.239:
	v_and_b32_e32 v26, 0xffff, v17
	v_or_b32_e32 v27, 0x10000, v17
	s_delay_alu instid0(VALU_DEP_2) | instskip(NEXT) | instid1(VALU_DEP_2)
	v_cmp_eq_u32_e32 vcc_lo, 0, v26
	v_cndmask_b32_e32 v26, v27, v17, vcc_lo
; %bb.240:
	s_or_b32 exec_lo, exec_lo, s6
	v_mul_lo_u32 v27, v25, s17
	s_ashr_i32 s6, s14, 31
	v_add_co_u32 v29, s7, s14, v45
	s_delay_alu instid0(VALU_DEP_1) | instskip(NEXT) | instid1(VALU_DEP_3)
	v_add_co_ci_u32_e64 v30, null, s6, 0, s7
	v_ashrrev_i32_e32 v28, 31, v27
	s_delay_alu instid0(VALU_DEP_2) | instskip(NEXT) | instid1(VALU_DEP_2)
	v_lshlrev_b64 v[29:30], 1, v[29:30]
	v_lshlrev_b64 v[27:28], 1, v[27:28]
	s_delay_alu instid0(VALU_DEP_1) | instskip(NEXT) | instid1(VALU_DEP_2)
	v_add_co_u32 v27, vcc_lo, s2, v27
	v_add_co_ci_u32_e32 v28, vcc_lo, s3, v28, vcc_lo
	s_delay_alu instid0(VALU_DEP_2) | instskip(NEXT) | instid1(VALU_DEP_2)
	v_add_co_u32 v27, vcc_lo, v27, v29
	v_add_co_ci_u32_e32 v28, vcc_lo, v28, v30, vcc_lo
	global_store_d16_hi_b16 v[27:28], v26, off offset:32
.LBB12_241:
	s_or_b32 exec_lo, exec_lo, s5
	v_or_b32_e32 v27, 2, v25
	s_mov_b32 s5, exec_lo
	s_delay_alu instid0(VALU_DEP_1)
	v_cmpx_gt_i32_e64 s16, v27
	s_cbranch_execz .LBB12_247
; %bb.242:
	s_waitcnt lgkmcnt(1)
	v_and_b32_e32 v26, 0x7f800000, v18
	s_delay_alu instid0(VALU_DEP_1) | instskip(SKIP_1) | instid1(SALU_CYCLE_1)
	v_cmp_ne_u32_e32 vcc_lo, 0x7f800000, v26
                                        ; implicit-def: $vgpr26
	s_and_saveexec_b32 s6, vcc_lo
	s_xor_b32 s6, exec_lo, s6
; %bb.243:
	v_bfe_u32 v26, v18, 16, 1
	s_delay_alu instid0(VALU_DEP_1)
	v_add3_u32 v26, v18, v26, 0x7fff
; %bb.244:
	s_and_not1_saveexec_b32 s6, s6
; %bb.245:
	v_and_b32_e32 v26, 0xffff, v18
	v_or_b32_e32 v28, 0x10000, v18
	s_delay_alu instid0(VALU_DEP_2) | instskip(NEXT) | instid1(VALU_DEP_2)
	v_cmp_eq_u32_e32 vcc_lo, 0, v26
	v_cndmask_b32_e32 v26, v28, v18, vcc_lo
; %bb.246:
	s_or_b32 exec_lo, exec_lo, s6
	v_mul_lo_u32 v27, v27, s17
	s_ashr_i32 s6, s14, 31
	v_add_co_u32 v29, s7, s14, v45
	s_delay_alu instid0(VALU_DEP_1) | instskip(NEXT) | instid1(VALU_DEP_3)
	v_add_co_ci_u32_e64 v30, null, s6, 0, s7
	v_ashrrev_i32_e32 v28, 31, v27
	s_delay_alu instid0(VALU_DEP_2) | instskip(NEXT) | instid1(VALU_DEP_2)
	v_lshlrev_b64 v[29:30], 1, v[29:30]
	v_lshlrev_b64 v[27:28], 1, v[27:28]
	s_delay_alu instid0(VALU_DEP_1) | instskip(NEXT) | instid1(VALU_DEP_2)
	v_add_co_u32 v27, vcc_lo, s2, v27
	v_add_co_ci_u32_e32 v28, vcc_lo, s3, v28, vcc_lo
	s_delay_alu instid0(VALU_DEP_2) | instskip(NEXT) | instid1(VALU_DEP_2)
	v_add_co_u32 v27, vcc_lo, v27, v29
	v_add_co_ci_u32_e32 v28, vcc_lo, v28, v30, vcc_lo
	global_store_d16_hi_b16 v[27:28], v26, off offset:32
.LBB12_247:
	s_or_b32 exec_lo, exec_lo, s5
	;; [unrolled: 45-line block ×7, first 2 shown]
	s_waitcnt lgkmcnt(1)
	v_or_b32_e32 v26, 14, v25
	s_delay_alu instid0(VALU_DEP_1)
	v_cmp_gt_i32_e32 vcc_lo, s16, v26
	s_and_b32 exec_lo, exec_lo, vcc_lo
	s_cbranch_execz .LBB12_283
; %bb.278:
	v_and_b32_e32 v25, 0x7f800000, v24
	s_delay_alu instid0(VALU_DEP_1) | instskip(SKIP_1) | instid1(SALU_CYCLE_1)
	v_cmp_ne_u32_e32 vcc_lo, 0x7f800000, v25
                                        ; implicit-def: $vgpr25
	s_and_saveexec_b32 s5, vcc_lo
	s_xor_b32 s5, exec_lo, s5
; %bb.279:
	v_bfe_u32 v25, v24, 16, 1
	s_delay_alu instid0(VALU_DEP_1)
	v_add3_u32 v25, v24, v25, 0x7fff
; %bb.280:
	s_and_not1_saveexec_b32 s5, s5
; %bb.281:
	v_and_b32_e32 v25, 0xffff, v24
	v_or_b32_e32 v27, 0x10000, v24
	s_delay_alu instid0(VALU_DEP_2) | instskip(NEXT) | instid1(VALU_DEP_2)
	v_cmp_eq_u32_e32 vcc_lo, 0, v25
	v_cndmask_b32_e32 v25, v27, v24, vcc_lo
; %bb.282:
	s_or_b32 exec_lo, exec_lo, s5
	v_mul_lo_u32 v26, v26, s17
	s_ashr_i32 s5, s14, 31
	v_add_co_u32 v28, s6, s14, v45
	s_delay_alu instid0(VALU_DEP_1) | instskip(NEXT) | instid1(VALU_DEP_3)
	v_add_co_ci_u32_e64 v29, null, s5, 0, s6
	v_ashrrev_i32_e32 v27, 31, v26
	s_delay_alu instid0(VALU_DEP_2) | instskip(NEXT) | instid1(VALU_DEP_2)
	v_lshlrev_b64 v[28:29], 1, v[28:29]
	v_lshlrev_b64 v[26:27], 1, v[26:27]
	s_delay_alu instid0(VALU_DEP_1) | instskip(NEXT) | instid1(VALU_DEP_2)
	v_add_co_u32 v26, vcc_lo, s2, v26
	v_add_co_ci_u32_e32 v27, vcc_lo, s3, v27, vcc_lo
	s_delay_alu instid0(VALU_DEP_2) | instskip(NEXT) | instid1(VALU_DEP_2)
	v_add_co_u32 v26, vcc_lo, v26, v28
	v_add_co_ci_u32_e32 v27, vcc_lo, v27, v29, vcc_lo
	global_store_d16_hi_b16 v[26:27], v25, off offset:32
.LBB12_283:
	s_or_b32 exec_lo, exec_lo, s1
	s_cbranch_execnz .LBB12_19
.LBB12_284:
	v_mbcnt_lo_u32_b32 v25, -1, 0
	v_or_b32_e32 v29, s0, v45
	s_waitcnt lgkmcnt(1)
	s_delay_alu instid0(VALU_DEP_2) | instskip(NEXT) | instid1(VALU_DEP_1)
	v_xor_b32_e32 v26, 1, v25
	v_cmp_gt_i32_e32 vcc_lo, 32, v26
	v_dual_cndmask_b32 v25, v25, v26 :: v_dual_and_b32 v26, 1, v0
	s_delay_alu instid0(VALU_DEP_1) | instskip(NEXT) | instid1(VALU_DEP_2)
	v_lshlrev_b32_e32 v30, 2, v25
	v_cmp_eq_u32_e32 vcc_lo, 0, v26
	ds_bpermute_b32 v25, v30, v17
	s_and_saveexec_b32 s5, vcc_lo
	s_cbranch_execz .LBB12_304
; %bb.285:
	v_or_b32_e32 v26, v47, v46
	v_cmp_gt_i32_e64 s1, s17, v29
	s_delay_alu instid0(VALU_DEP_2) | instskip(NEXT) | instid1(VALU_DEP_1)
	v_cmp_gt_i32_e64 s0, s16, v26
	s_and_b32 s0, s0, s1
	s_delay_alu instid0(SALU_CYCLE_1)
	s_and_b32 exec_lo, exec_lo, s0
	s_cbranch_execz .LBB12_304
; %bb.286:
	v_and_b32_e32 v27, 0x7f800000, v17
	s_delay_alu instid0(VALU_DEP_1) | instskip(NEXT) | instid1(VALU_DEP_1)
	v_cmp_ne_u32_e64 s0, 0x7f800000, v27
                                        ; implicit-def: $vgpr27
	s_and_saveexec_b32 s1, s0
	s_delay_alu instid0(SALU_CYCLE_1)
	s_xor_b32 s0, exec_lo, s1
; %bb.287:
	v_bfe_u32 v27, v17, 16, 1
	s_delay_alu instid0(VALU_DEP_1)
	v_add3_u32 v27, v17, v27, 0x7fff
; %bb.288:
	s_and_not1_saveexec_b32 s1, s0
; %bb.289:
	v_and_b32_e32 v27, 0xffff, v17
	v_or_b32_e32 v28, 0x10000, v17
	s_delay_alu instid0(VALU_DEP_2) | instskip(NEXT) | instid1(VALU_DEP_1)
	v_cmp_eq_u32_e64 s0, 0, v27
	v_cndmask_b32_e64 v27, v28, v17, s0
; %bb.290:
	s_or_b32 exec_lo, exec_lo, s1
	s_waitcnt lgkmcnt(0)
	v_and_b32_e32 v17, 0x7f800000, v25
                                        ; implicit-def: $vgpr31
	s_delay_alu instid0(VALU_DEP_1) | instskip(NEXT) | instid1(VALU_DEP_1)
	v_cmp_ne_u32_e64 s0, 0x7f800000, v17
	s_and_saveexec_b32 s1, s0
	s_delay_alu instid0(SALU_CYCLE_1)
	s_xor_b32 s0, exec_lo, s1
; %bb.291:
	v_bfe_u32 v17, v25, 16, 1
	s_delay_alu instid0(VALU_DEP_1)
	v_add3_u32 v31, v25, v17, 0x7fff
                                        ; implicit-def: $vgpr25
; %bb.292:
	s_and_not1_saveexec_b32 s1, s0
; %bb.293:
	v_and_b32_e32 v17, 0xffff, v25
	v_or_b32_e32 v28, 0x10000, v25
	s_delay_alu instid0(VALU_DEP_2) | instskip(NEXT) | instid1(VALU_DEP_1)
	v_cmp_eq_u32_e64 s0, 0, v17
	v_cndmask_b32_e64 v31, v28, v25, s0
; %bb.294:
	s_or_b32 exec_lo, exec_lo, s1
	v_mul_lo_u32 v25, v26, s17
	s_ashr_i32 s0, s14, 31
	v_add_co_u32 v32, s1, s14, v45
	s_delay_alu instid0(VALU_DEP_1) | instskip(SKIP_2) | instid1(VALU_DEP_4)
	v_add_co_ci_u32_e64 v33, null, s0, 0, s1
	v_and_b32_e32 v31, 0xffff0000, v31
	s_mov_b32 s1, 0
	v_ashrrev_i32_e32 v26, 31, v25
	s_delay_alu instid0(VALU_DEP_3) | instskip(NEXT) | instid1(VALU_DEP_2)
	v_lshlrev_b64 v[32:33], 1, v[32:33]
	v_lshlrev_b64 v[25:26], 1, v[25:26]
	s_delay_alu instid0(VALU_DEP_1) | instskip(NEXT) | instid1(VALU_DEP_1)
	v_add_co_u32 v17, s0, s2, v25
	v_add_co_ci_u32_e64 v26, s0, s3, v26, s0
	s_delay_alu instid0(VALU_DEP_2) | instskip(NEXT) | instid1(VALU_DEP_1)
	v_add_co_u32 v25, s0, v17, v32
	v_add_co_ci_u32_e64 v26, s0, v26, v33, s0
	v_and_b32_e32 v17, 0xffff0000, v27
	global_load_b32 v28, v[25:26], off offset:32
	s_branch .LBB12_296
.LBB12_295:                             ;   in Loop: Header=BB12_296 Depth=1
	s_or_b32 exec_lo, exec_lo, s6
	v_lshrrev_b32_e32 v27, 16, v27
	s_delay_alu instid0(VALU_DEP_1) | instskip(SKIP_4) | instid1(VALU_DEP_2)
	v_and_or_b32 v27, 0xffff0000, v33, v27
	global_atomic_cmpswap_b32 v27, v[25:26], v[27:28], off offset:32 glc
	s_waitcnt vmcnt(0)
	v_cmp_eq_u32_e64 s0, v27, v28
	v_mov_b32_e32 v28, v27
	s_or_b32 s1, s0, s1
	s_delay_alu instid0(SALU_CYCLE_1)
	s_and_not1_b32 exec_lo, exec_lo, s1
	s_cbranch_execz .LBB12_304
.LBB12_296:                             ; =>This Inner Loop Header: Depth=1
	s_waitcnt vmcnt(0)
	v_lshlrev_b32_e32 v27, 16, v28
	s_delay_alu instid0(VALU_DEP_1) | instskip(NEXT) | instid1(VALU_DEP_1)
	v_add_f32_e32 v32, v17, v27
	v_and_b32_e32 v27, 0x7f800000, v32
	s_delay_alu instid0(VALU_DEP_1) | instskip(NEXT) | instid1(VALU_DEP_1)
	v_cmp_ne_u32_e64 s0, 0x7f800000, v27
                                        ; implicit-def: $vgpr27
	s_and_saveexec_b32 s6, s0
	s_delay_alu instid0(SALU_CYCLE_1)
	s_xor_b32 s0, exec_lo, s6
; %bb.297:                              ;   in Loop: Header=BB12_296 Depth=1
	v_bfe_u32 v27, v32, 16, 1
	s_delay_alu instid0(VALU_DEP_1)
	v_add3_u32 v27, v32, v27, 0x7fff
                                        ; implicit-def: $vgpr32
; %bb.298:                              ;   in Loop: Header=BB12_296 Depth=1
	s_and_not1_saveexec_b32 s6, s0
; %bb.299:                              ;   in Loop: Header=BB12_296 Depth=1
	v_and_b32_e32 v27, 0xffff, v32
	v_or_b32_e32 v33, 0x10000, v32
	s_delay_alu instid0(VALU_DEP_2) | instskip(NEXT) | instid1(VALU_DEP_1)
	v_cmp_eq_u32_e64 s0, 0, v27
	v_cndmask_b32_e64 v27, v33, v32, s0
; %bb.300:                              ;   in Loop: Header=BB12_296 Depth=1
	s_or_b32 exec_lo, exec_lo, s6
	v_and_b32_e32 v32, 0xffff0000, v28
	s_delay_alu instid0(VALU_DEP_1) | instskip(NEXT) | instid1(VALU_DEP_1)
	v_add_f32_e32 v32, v31, v32
	v_and_b32_e32 v33, 0x7f800000, v32
	s_delay_alu instid0(VALU_DEP_1) | instskip(NEXT) | instid1(VALU_DEP_1)
	v_cmp_ne_u32_e64 s0, 0x7f800000, v33
                                        ; implicit-def: $vgpr33
	s_and_saveexec_b32 s6, s0
	s_delay_alu instid0(SALU_CYCLE_1)
	s_xor_b32 s0, exec_lo, s6
; %bb.301:                              ;   in Loop: Header=BB12_296 Depth=1
	v_bfe_u32 v33, v32, 16, 1
	s_delay_alu instid0(VALU_DEP_1)
	v_add3_u32 v33, v32, v33, 0x7fff
                                        ; implicit-def: $vgpr32
; %bb.302:                              ;   in Loop: Header=BB12_296 Depth=1
	s_and_not1_saveexec_b32 s6, s0
	s_cbranch_execz .LBB12_295
; %bb.303:                              ;   in Loop: Header=BB12_296 Depth=1
	v_and_b32_e32 v33, 0xffff, v32
	v_or_b32_e32 v34, 0x10000, v32
	s_delay_alu instid0(VALU_DEP_2) | instskip(NEXT) | instid1(VALU_DEP_1)
	v_cmp_eq_u32_e64 s0, 0, v33
	v_cndmask_b32_e64 v33, v34, v32, s0
	s_branch .LBB12_295
.LBB12_304:
	s_or_b32 exec_lo, exec_lo, s5
	ds_bpermute_b32 v26, v30, v18
	s_and_saveexec_b32 s5, vcc_lo
	s_cbranch_execz .LBB12_324
; %bb.305:
	v_or3_b32 v17, v46, v47, 2
	v_cmp_gt_i32_e64 s1, s17, v29
	s_delay_alu instid0(VALU_DEP_2) | instskip(NEXT) | instid1(VALU_DEP_1)
	v_cmp_gt_i32_e64 s0, s16, v17
	s_and_b32 s0, s0, s1
	s_delay_alu instid0(SALU_CYCLE_1)
	s_and_b32 exec_lo, exec_lo, s0
	s_cbranch_execz .LBB12_324
; %bb.306:
	s_waitcnt lgkmcnt(1)
	v_and_b32_e32 v25, 0x7f800000, v18
	s_delay_alu instid0(VALU_DEP_1) | instskip(NEXT) | instid1(VALU_DEP_1)
	v_cmp_ne_u32_e64 s0, 0x7f800000, v25
                                        ; implicit-def: $vgpr25
	s_and_saveexec_b32 s1, s0
	s_delay_alu instid0(SALU_CYCLE_1)
	s_xor_b32 s0, exec_lo, s1
; %bb.307:
	v_bfe_u32 v25, v18, 16, 1
	s_delay_alu instid0(VALU_DEP_1)
	v_add3_u32 v25, v18, v25, 0x7fff
; %bb.308:
	s_and_not1_saveexec_b32 s1, s0
; %bb.309:
	v_and_b32_e32 v25, 0xffff, v18
	v_or_b32_e32 v27, 0x10000, v18
	s_delay_alu instid0(VALU_DEP_2) | instskip(NEXT) | instid1(VALU_DEP_1)
	v_cmp_eq_u32_e64 s0, 0, v25
	v_cndmask_b32_e64 v25, v27, v18, s0
; %bb.310:
	s_or_b32 exec_lo, exec_lo, s1
	s_waitcnt lgkmcnt(0)
	v_and_b32_e32 v18, 0x7f800000, v26
                                        ; implicit-def: $vgpr28
	s_delay_alu instid0(VALU_DEP_1) | instskip(NEXT) | instid1(VALU_DEP_1)
	v_cmp_ne_u32_e64 s0, 0x7f800000, v18
	s_and_saveexec_b32 s1, s0
	s_delay_alu instid0(SALU_CYCLE_1)
	s_xor_b32 s0, exec_lo, s1
; %bb.311:
	v_bfe_u32 v18, v26, 16, 1
	s_delay_alu instid0(VALU_DEP_1)
	v_add3_u32 v28, v26, v18, 0x7fff
                                        ; implicit-def: $vgpr26
; %bb.312:
	s_and_not1_saveexec_b32 s1, s0
; %bb.313:
	v_and_b32_e32 v18, 0xffff, v26
	v_or_b32_e32 v27, 0x10000, v26
	s_delay_alu instid0(VALU_DEP_2) | instskip(NEXT) | instid1(VALU_DEP_1)
	v_cmp_eq_u32_e64 s0, 0, v18
	v_cndmask_b32_e64 v28, v27, v26, s0
; %bb.314:
	s_or_b32 exec_lo, exec_lo, s1
	v_mul_lo_u32 v17, v17, s17
	s_ashr_i32 s0, s14, 31
	v_add_co_u32 v26, s1, s14, v45
	s_delay_alu instid0(VALU_DEP_1) | instskip(SKIP_2) | instid1(VALU_DEP_4)
	v_add_co_ci_u32_e64 v27, null, s0, 0, s1
	v_and_b32_e32 v28, 0xffff0000, v28
	s_mov_b32 s1, 0
	v_ashrrev_i32_e32 v18, 31, v17
	s_delay_alu instid0(VALU_DEP_3) | instskip(NEXT) | instid1(VALU_DEP_2)
	v_lshlrev_b64 v[26:27], 1, v[26:27]
	v_lshlrev_b64 v[17:18], 1, v[17:18]
	s_delay_alu instid0(VALU_DEP_1) | instskip(NEXT) | instid1(VALU_DEP_1)
	v_add_co_u32 v17, s0, s2, v17
	v_add_co_ci_u32_e64 v18, s0, s3, v18, s0
	s_delay_alu instid0(VALU_DEP_2) | instskip(NEXT) | instid1(VALU_DEP_1)
	v_add_co_u32 v17, s0, v17, v26
	v_add_co_ci_u32_e64 v18, s0, v18, v27, s0
	v_and_b32_e32 v27, 0xffff0000, v25
	global_load_b32 v26, v[17:18], off offset:32
	s_branch .LBB12_316
.LBB12_315:                             ;   in Loop: Header=BB12_316 Depth=1
	s_or_b32 exec_lo, exec_lo, s6
	v_lshrrev_b32_e32 v25, 16, v25
	s_delay_alu instid0(VALU_DEP_1) | instskip(SKIP_4) | instid1(VALU_DEP_2)
	v_and_or_b32 v25, 0xffff0000, v32, v25
	global_atomic_cmpswap_b32 v25, v[17:18], v[25:26], off offset:32 glc
	s_waitcnt vmcnt(0)
	v_cmp_eq_u32_e64 s0, v25, v26
	v_mov_b32_e32 v26, v25
	s_or_b32 s1, s0, s1
	s_delay_alu instid0(SALU_CYCLE_1)
	s_and_not1_b32 exec_lo, exec_lo, s1
	s_cbranch_execz .LBB12_324
.LBB12_316:                             ; =>This Inner Loop Header: Depth=1
	s_waitcnt vmcnt(0)
	v_lshlrev_b32_e32 v25, 16, v26
	s_delay_alu instid0(VALU_DEP_1) | instskip(NEXT) | instid1(VALU_DEP_1)
	v_add_f32_e32 v31, v27, v25
	v_and_b32_e32 v25, 0x7f800000, v31
	s_delay_alu instid0(VALU_DEP_1) | instskip(NEXT) | instid1(VALU_DEP_1)
	v_cmp_ne_u32_e64 s0, 0x7f800000, v25
                                        ; implicit-def: $vgpr25
	s_and_saveexec_b32 s6, s0
	s_delay_alu instid0(SALU_CYCLE_1)
	s_xor_b32 s0, exec_lo, s6
; %bb.317:                              ;   in Loop: Header=BB12_316 Depth=1
	v_bfe_u32 v25, v31, 16, 1
	s_delay_alu instid0(VALU_DEP_1)
	v_add3_u32 v25, v31, v25, 0x7fff
                                        ; implicit-def: $vgpr31
; %bb.318:                              ;   in Loop: Header=BB12_316 Depth=1
	s_and_not1_saveexec_b32 s6, s0
; %bb.319:                              ;   in Loop: Header=BB12_316 Depth=1
	v_and_b32_e32 v25, 0xffff, v31
	v_or_b32_e32 v32, 0x10000, v31
	s_delay_alu instid0(VALU_DEP_2) | instskip(NEXT) | instid1(VALU_DEP_1)
	v_cmp_eq_u32_e64 s0, 0, v25
	v_cndmask_b32_e64 v25, v32, v31, s0
; %bb.320:                              ;   in Loop: Header=BB12_316 Depth=1
	s_or_b32 exec_lo, exec_lo, s6
	v_and_b32_e32 v31, 0xffff0000, v26
	s_delay_alu instid0(VALU_DEP_1) | instskip(NEXT) | instid1(VALU_DEP_1)
	v_add_f32_e32 v31, v28, v31
	v_and_b32_e32 v32, 0x7f800000, v31
	s_delay_alu instid0(VALU_DEP_1) | instskip(NEXT) | instid1(VALU_DEP_1)
	v_cmp_ne_u32_e64 s0, 0x7f800000, v32
                                        ; implicit-def: $vgpr32
	s_and_saveexec_b32 s6, s0
	s_delay_alu instid0(SALU_CYCLE_1)
	s_xor_b32 s0, exec_lo, s6
; %bb.321:                              ;   in Loop: Header=BB12_316 Depth=1
	v_bfe_u32 v32, v31, 16, 1
	s_delay_alu instid0(VALU_DEP_1)
	v_add3_u32 v32, v31, v32, 0x7fff
                                        ; implicit-def: $vgpr31
; %bb.322:                              ;   in Loop: Header=BB12_316 Depth=1
	s_and_not1_saveexec_b32 s6, s0
	s_cbranch_execz .LBB12_315
; %bb.323:                              ;   in Loop: Header=BB12_316 Depth=1
	v_and_b32_e32 v32, 0xffff, v31
	v_or_b32_e32 v33, 0x10000, v31
	s_delay_alu instid0(VALU_DEP_2) | instskip(NEXT) | instid1(VALU_DEP_1)
	v_cmp_eq_u32_e64 s0, 0, v32
	v_cndmask_b32_e64 v32, v33, v31, s0
	s_branch .LBB12_315
.LBB12_324:
	s_or_b32 exec_lo, exec_lo, s5
	ds_bpermute_b32 v18, v30, v19
	s_and_saveexec_b32 s5, vcc_lo
	s_cbranch_execz .LBB12_344
; %bb.325:
	v_or3_b32 v17, v46, v47, 4
	v_cmp_gt_i32_e64 s1, s17, v29
	s_delay_alu instid0(VALU_DEP_2) | instskip(NEXT) | instid1(VALU_DEP_1)
	v_cmp_gt_i32_e64 s0, s16, v17
	s_and_b32 s0, s0, s1
	s_delay_alu instid0(SALU_CYCLE_1)
	s_and_b32 exec_lo, exec_lo, s0
	s_cbranch_execz .LBB12_344
; %bb.326:
	s_waitcnt lgkmcnt(2)
	v_and_b32_e32 v25, 0x7f800000, v19
	s_delay_alu instid0(VALU_DEP_1) | instskip(NEXT) | instid1(VALU_DEP_1)
	v_cmp_ne_u32_e64 s0, 0x7f800000, v25
                                        ; implicit-def: $vgpr25
	s_and_saveexec_b32 s1, s0
	s_delay_alu instid0(SALU_CYCLE_1)
	s_xor_b32 s0, exec_lo, s1
; %bb.327:
	v_bfe_u32 v25, v19, 16, 1
	s_delay_alu instid0(VALU_DEP_1)
	v_add3_u32 v25, v19, v25, 0x7fff
; %bb.328:
	s_and_not1_saveexec_b32 s1, s0
	s_cbranch_execz .LBB12_330
; %bb.329:
	v_and_b32_e32 v25, 0xffff, v19
	s_waitcnt lgkmcnt(1)
	v_or_b32_e32 v26, 0x10000, v19
	s_delay_alu instid0(VALU_DEP_2) | instskip(NEXT) | instid1(VALU_DEP_1)
	v_cmp_eq_u32_e64 s0, 0, v25
	v_cndmask_b32_e64 v25, v26, v19, s0
.LBB12_330:
	s_or_b32 exec_lo, exec_lo, s1
	s_waitcnt lgkmcnt(0)
	v_and_b32_e32 v19, 0x7f800000, v18
                                        ; implicit-def: $vgpr27
	s_delay_alu instid0(VALU_DEP_1) | instskip(NEXT) | instid1(VALU_DEP_1)
	v_cmp_ne_u32_e64 s0, 0x7f800000, v19
	s_and_saveexec_b32 s1, s0
	s_delay_alu instid0(SALU_CYCLE_1)
	s_xor_b32 s0, exec_lo, s1
; %bb.331:
	v_bfe_u32 v19, v18, 16, 1
	s_delay_alu instid0(VALU_DEP_1)
	v_add3_u32 v27, v18, v19, 0x7fff
                                        ; implicit-def: $vgpr18
; %bb.332:
	s_and_not1_saveexec_b32 s1, s0
; %bb.333:
	v_and_b32_e32 v19, 0xffff, v18
	v_or_b32_e32 v26, 0x10000, v18
	s_delay_alu instid0(VALU_DEP_2) | instskip(NEXT) | instid1(VALU_DEP_1)
	v_cmp_eq_u32_e64 s0, 0, v19
	v_cndmask_b32_e64 v27, v26, v18, s0
; %bb.334:
	s_or_b32 exec_lo, exec_lo, s1
	v_mul_lo_u32 v17, v17, s17
	s_ashr_i32 s0, s14, 31
	v_add_co_u32 v31, s1, s14, v45
	s_delay_alu instid0(VALU_DEP_1) | instskip(SKIP_3) | instid1(VALU_DEP_4)
	v_add_co_ci_u32_e64 v32, null, s0, 0, s1
	v_and_b32_e32 v19, 0xffff0000, v25
	v_and_b32_e32 v27, 0xffff0000, v27
	v_ashrrev_i32_e32 v18, 31, v17
	v_lshlrev_b64 v[31:32], 1, v[31:32]
	s_mov_b32 s1, 0
	s_delay_alu instid0(VALU_DEP_2) | instskip(NEXT) | instid1(VALU_DEP_1)
	v_lshlrev_b64 v[17:18], 1, v[17:18]
	v_add_co_u32 v17, s0, s2, v17
	s_delay_alu instid0(VALU_DEP_1) | instskip(NEXT) | instid1(VALU_DEP_2)
	v_add_co_ci_u32_e64 v18, s0, s3, v18, s0
	v_add_co_u32 v17, s0, v17, v31
	s_delay_alu instid0(VALU_DEP_1)
	v_add_co_ci_u32_e64 v18, s0, v18, v32, s0
	global_load_b32 v26, v[17:18], off offset:32
	s_branch .LBB12_336
.LBB12_335:                             ;   in Loop: Header=BB12_336 Depth=1
	s_or_b32 exec_lo, exec_lo, s6
	v_lshrrev_b32_e32 v25, 16, v25
	s_delay_alu instid0(VALU_DEP_1) | instskip(SKIP_4) | instid1(VALU_DEP_2)
	v_and_or_b32 v25, 0xffff0000, v31, v25
	global_atomic_cmpswap_b32 v25, v[17:18], v[25:26], off offset:32 glc
	s_waitcnt vmcnt(0)
	v_cmp_eq_u32_e64 s0, v25, v26
	v_mov_b32_e32 v26, v25
	s_or_b32 s1, s0, s1
	s_delay_alu instid0(SALU_CYCLE_1)
	s_and_not1_b32 exec_lo, exec_lo, s1
	s_cbranch_execz .LBB12_344
.LBB12_336:                             ; =>This Inner Loop Header: Depth=1
	s_waitcnt vmcnt(0)
	v_lshlrev_b32_e32 v25, 16, v26
	s_delay_alu instid0(VALU_DEP_1) | instskip(NEXT) | instid1(VALU_DEP_1)
	v_add_f32_e32 v28, v19, v25
	v_and_b32_e32 v25, 0x7f800000, v28
	s_delay_alu instid0(VALU_DEP_1) | instskip(NEXT) | instid1(VALU_DEP_1)
	v_cmp_ne_u32_e64 s0, 0x7f800000, v25
                                        ; implicit-def: $vgpr25
	s_and_saveexec_b32 s6, s0
	s_delay_alu instid0(SALU_CYCLE_1)
	s_xor_b32 s0, exec_lo, s6
; %bb.337:                              ;   in Loop: Header=BB12_336 Depth=1
	v_bfe_u32 v25, v28, 16, 1
	s_delay_alu instid0(VALU_DEP_1)
	v_add3_u32 v25, v28, v25, 0x7fff
                                        ; implicit-def: $vgpr28
; %bb.338:                              ;   in Loop: Header=BB12_336 Depth=1
	s_and_not1_saveexec_b32 s6, s0
; %bb.339:                              ;   in Loop: Header=BB12_336 Depth=1
	v_and_b32_e32 v25, 0xffff, v28
	v_or_b32_e32 v31, 0x10000, v28
	s_delay_alu instid0(VALU_DEP_2) | instskip(NEXT) | instid1(VALU_DEP_1)
	v_cmp_eq_u32_e64 s0, 0, v25
	v_cndmask_b32_e64 v25, v31, v28, s0
; %bb.340:                              ;   in Loop: Header=BB12_336 Depth=1
	s_or_b32 exec_lo, exec_lo, s6
	v_and_b32_e32 v28, 0xffff0000, v26
	s_delay_alu instid0(VALU_DEP_1) | instskip(NEXT) | instid1(VALU_DEP_1)
	v_add_f32_e32 v28, v27, v28
	v_and_b32_e32 v31, 0x7f800000, v28
	s_delay_alu instid0(VALU_DEP_1) | instskip(NEXT) | instid1(VALU_DEP_1)
	v_cmp_ne_u32_e64 s0, 0x7f800000, v31
                                        ; implicit-def: $vgpr31
	s_and_saveexec_b32 s6, s0
	s_delay_alu instid0(SALU_CYCLE_1)
	s_xor_b32 s0, exec_lo, s6
; %bb.341:                              ;   in Loop: Header=BB12_336 Depth=1
	v_bfe_u32 v31, v28, 16, 1
	s_delay_alu instid0(VALU_DEP_1)
	v_add3_u32 v31, v28, v31, 0x7fff
                                        ; implicit-def: $vgpr28
; %bb.342:                              ;   in Loop: Header=BB12_336 Depth=1
	s_and_not1_saveexec_b32 s6, s0
	s_cbranch_execz .LBB12_335
; %bb.343:                              ;   in Loop: Header=BB12_336 Depth=1
	v_and_b32_e32 v31, 0xffff, v28
	v_or_b32_e32 v32, 0x10000, v28
	s_delay_alu instid0(VALU_DEP_2) | instskip(NEXT) | instid1(VALU_DEP_1)
	v_cmp_eq_u32_e64 s0, 0, v31
	v_cndmask_b32_e64 v31, v32, v28, s0
	s_branch .LBB12_335
.LBB12_344:
	s_or_b32 exec_lo, exec_lo, s5
	s_waitcnt lgkmcnt(0)
	ds_bpermute_b32 v18, v30, v20
	s_and_saveexec_b32 s5, vcc_lo
	s_cbranch_execz .LBB12_364
; %bb.345:
	v_or3_b32 v17, v46, v47, 6
	v_cmp_gt_i32_e64 s1, s17, v29
	s_delay_alu instid0(VALU_DEP_2) | instskip(NEXT) | instid1(VALU_DEP_1)
	v_cmp_gt_i32_e64 s0, s16, v17
	s_and_b32 s0, s0, s1
	s_delay_alu instid0(SALU_CYCLE_1)
	s_and_b32 exec_lo, exec_lo, s0
	s_cbranch_execz .LBB12_364
; %bb.346:
	v_and_b32_e32 v19, 0x7f800000, v20
	s_delay_alu instid0(VALU_DEP_1) | instskip(NEXT) | instid1(VALU_DEP_1)
	v_cmp_ne_u32_e64 s0, 0x7f800000, v19
                                        ; implicit-def: $vgpr19
	s_and_saveexec_b32 s1, s0
	s_delay_alu instid0(SALU_CYCLE_1)
	s_xor_b32 s0, exec_lo, s1
; %bb.347:
	v_bfe_u32 v19, v20, 16, 1
	s_delay_alu instid0(VALU_DEP_1)
	v_add3_u32 v19, v20, v19, 0x7fff
; %bb.348:
	s_and_not1_saveexec_b32 s1, s0
; %bb.349:
	v_and_b32_e32 v19, 0xffff, v20
	v_or_b32_e32 v25, 0x10000, v20
	s_delay_alu instid0(VALU_DEP_2) | instskip(NEXT) | instid1(VALU_DEP_1)
	v_cmp_eq_u32_e64 s0, 0, v19
	v_cndmask_b32_e64 v19, v25, v20, s0
; %bb.350:
	s_or_b32 exec_lo, exec_lo, s1
	s_waitcnt lgkmcnt(0)
	v_and_b32_e32 v20, 0x7f800000, v18
                                        ; implicit-def: $vgpr26
	s_delay_alu instid0(VALU_DEP_1) | instskip(NEXT) | instid1(VALU_DEP_1)
	v_cmp_ne_u32_e64 s0, 0x7f800000, v20
	s_and_saveexec_b32 s1, s0
	s_delay_alu instid0(SALU_CYCLE_1)
	s_xor_b32 s0, exec_lo, s1
; %bb.351:
	v_bfe_u32 v20, v18, 16, 1
	s_delay_alu instid0(VALU_DEP_1)
	v_add3_u32 v26, v18, v20, 0x7fff
                                        ; implicit-def: $vgpr18
; %bb.352:
	s_and_not1_saveexec_b32 s1, s0
; %bb.353:
	v_and_b32_e32 v20, 0xffff, v18
	v_or_b32_e32 v25, 0x10000, v18
	s_delay_alu instid0(VALU_DEP_2) | instskip(NEXT) | instid1(VALU_DEP_1)
	v_cmp_eq_u32_e64 s0, 0, v20
	v_cndmask_b32_e64 v26, v25, v18, s0
; %bb.354:
	s_or_b32 exec_lo, exec_lo, s1
	v_mul_lo_u32 v17, v17, s17
	s_ashr_i32 s0, s14, 31
	v_add_co_u32 v27, s1, s14, v45
	s_delay_alu instid0(VALU_DEP_1) | instskip(SKIP_3) | instid1(VALU_DEP_4)
	v_add_co_ci_u32_e64 v28, null, s0, 0, s1
	v_and_b32_e32 v25, 0xffff0000, v19
	v_and_b32_e32 v26, 0xffff0000, v26
	v_ashrrev_i32_e32 v18, 31, v17
	v_lshlrev_b64 v[27:28], 1, v[27:28]
	s_mov_b32 s1, 0
	s_delay_alu instid0(VALU_DEP_2) | instskip(NEXT) | instid1(VALU_DEP_1)
	v_lshlrev_b64 v[17:18], 1, v[17:18]
	v_add_co_u32 v17, s0, s2, v17
	s_delay_alu instid0(VALU_DEP_1) | instskip(NEXT) | instid1(VALU_DEP_2)
	v_add_co_ci_u32_e64 v18, s0, s3, v18, s0
	v_add_co_u32 v17, s0, v17, v27
	s_delay_alu instid0(VALU_DEP_1)
	v_add_co_ci_u32_e64 v18, s0, v18, v28, s0
	global_load_b32 v20, v[17:18], off offset:32
	s_branch .LBB12_356
.LBB12_355:                             ;   in Loop: Header=BB12_356 Depth=1
	s_or_b32 exec_lo, exec_lo, s6
	v_lshrrev_b32_e32 v19, 16, v19
	s_delay_alu instid0(VALU_DEP_1) | instskip(SKIP_4) | instid1(VALU_DEP_2)
	v_and_or_b32 v19, 0xffff0000, v28, v19
	global_atomic_cmpswap_b32 v19, v[17:18], v[19:20], off offset:32 glc
	s_waitcnt vmcnt(0)
	v_cmp_eq_u32_e64 s0, v19, v20
	v_mov_b32_e32 v20, v19
	s_or_b32 s1, s0, s1
	s_delay_alu instid0(SALU_CYCLE_1)
	s_and_not1_b32 exec_lo, exec_lo, s1
	s_cbranch_execz .LBB12_364
.LBB12_356:                             ; =>This Inner Loop Header: Depth=1
	s_waitcnt vmcnt(0)
	v_lshlrev_b32_e32 v19, 16, v20
	s_delay_alu instid0(VALU_DEP_1) | instskip(NEXT) | instid1(VALU_DEP_1)
	v_add_f32_e32 v27, v25, v19
	v_and_b32_e32 v19, 0x7f800000, v27
	s_delay_alu instid0(VALU_DEP_1) | instskip(NEXT) | instid1(VALU_DEP_1)
	v_cmp_ne_u32_e64 s0, 0x7f800000, v19
                                        ; implicit-def: $vgpr19
	s_and_saveexec_b32 s6, s0
	s_delay_alu instid0(SALU_CYCLE_1)
	s_xor_b32 s0, exec_lo, s6
; %bb.357:                              ;   in Loop: Header=BB12_356 Depth=1
	v_bfe_u32 v19, v27, 16, 1
	s_delay_alu instid0(VALU_DEP_1)
	v_add3_u32 v19, v27, v19, 0x7fff
                                        ; implicit-def: $vgpr27
; %bb.358:                              ;   in Loop: Header=BB12_356 Depth=1
	s_and_not1_saveexec_b32 s6, s0
; %bb.359:                              ;   in Loop: Header=BB12_356 Depth=1
	v_and_b32_e32 v19, 0xffff, v27
	v_or_b32_e32 v28, 0x10000, v27
	s_delay_alu instid0(VALU_DEP_2) | instskip(NEXT) | instid1(VALU_DEP_1)
	v_cmp_eq_u32_e64 s0, 0, v19
	v_cndmask_b32_e64 v19, v28, v27, s0
; %bb.360:                              ;   in Loop: Header=BB12_356 Depth=1
	s_or_b32 exec_lo, exec_lo, s6
	v_and_b32_e32 v27, 0xffff0000, v20
	s_delay_alu instid0(VALU_DEP_1) | instskip(NEXT) | instid1(VALU_DEP_1)
	v_add_f32_e32 v27, v26, v27
	v_and_b32_e32 v28, 0x7f800000, v27
	s_delay_alu instid0(VALU_DEP_1) | instskip(NEXT) | instid1(VALU_DEP_1)
	v_cmp_ne_u32_e64 s0, 0x7f800000, v28
                                        ; implicit-def: $vgpr28
	s_and_saveexec_b32 s6, s0
	s_delay_alu instid0(SALU_CYCLE_1)
	s_xor_b32 s0, exec_lo, s6
; %bb.361:                              ;   in Loop: Header=BB12_356 Depth=1
	v_bfe_u32 v28, v27, 16, 1
	s_delay_alu instid0(VALU_DEP_1)
	v_add3_u32 v28, v27, v28, 0x7fff
                                        ; implicit-def: $vgpr27
; %bb.362:                              ;   in Loop: Header=BB12_356 Depth=1
	s_and_not1_saveexec_b32 s6, s0
	s_cbranch_execz .LBB12_355
; %bb.363:                              ;   in Loop: Header=BB12_356 Depth=1
	v_and_b32_e32 v28, 0xffff, v27
	v_or_b32_e32 v31, 0x10000, v27
	s_delay_alu instid0(VALU_DEP_2) | instskip(NEXT) | instid1(VALU_DEP_1)
	v_cmp_eq_u32_e64 s0, 0, v28
	v_cndmask_b32_e64 v28, v31, v27, s0
	s_branch .LBB12_355
.LBB12_364:
	s_or_b32 exec_lo, exec_lo, s5
	s_waitcnt lgkmcnt(0)
	ds_bpermute_b32 v18, v30, v21
	s_and_saveexec_b32 s5, vcc_lo
	s_cbranch_execz .LBB12_384
; %bb.365:
	v_or3_b32 v17, v46, v47, 8
	v_cmp_gt_i32_e64 s1, s17, v29
	s_delay_alu instid0(VALU_DEP_2) | instskip(NEXT) | instid1(VALU_DEP_1)
	v_cmp_gt_i32_e64 s0, s16, v17
	s_and_b32 s0, s0, s1
	s_delay_alu instid0(SALU_CYCLE_1)
	s_and_b32 exec_lo, exec_lo, s0
	s_cbranch_execz .LBB12_384
; %bb.366:
	v_and_b32_e32 v19, 0x7f800000, v21
	s_delay_alu instid0(VALU_DEP_1) | instskip(NEXT) | instid1(VALU_DEP_1)
	v_cmp_ne_u32_e64 s0, 0x7f800000, v19
                                        ; implicit-def: $vgpr19
	s_and_saveexec_b32 s1, s0
	s_delay_alu instid0(SALU_CYCLE_1)
	s_xor_b32 s0, exec_lo, s1
; %bb.367:
	v_bfe_u32 v19, v21, 16, 1
	s_delay_alu instid0(VALU_DEP_1)
	v_add3_u32 v19, v21, v19, 0x7fff
; %bb.368:
	s_and_not1_saveexec_b32 s1, s0
; %bb.369:
	v_and_b32_e32 v19, 0xffff, v21
	v_or_b32_e32 v20, 0x10000, v21
	s_delay_alu instid0(VALU_DEP_2) | instskip(NEXT) | instid1(VALU_DEP_1)
	v_cmp_eq_u32_e64 s0, 0, v19
	v_cndmask_b32_e64 v19, v20, v21, s0
; %bb.370:
	s_or_b32 exec_lo, exec_lo, s1
	s_waitcnt lgkmcnt(0)
	v_and_b32_e32 v20, 0x7f800000, v18
                                        ; implicit-def: $vgpr25
	s_delay_alu instid0(VALU_DEP_1) | instskip(NEXT) | instid1(VALU_DEP_1)
	v_cmp_ne_u32_e64 s0, 0x7f800000, v20
	s_and_saveexec_b32 s1, s0
	s_delay_alu instid0(SALU_CYCLE_1)
	s_xor_b32 s0, exec_lo, s1
; %bb.371:
	v_bfe_u32 v20, v18, 16, 1
	s_delay_alu instid0(VALU_DEP_1)
	v_add3_u32 v25, v18, v20, 0x7fff
                                        ; implicit-def: $vgpr18
; %bb.372:
	s_and_not1_saveexec_b32 s1, s0
; %bb.373:
	v_and_b32_e32 v20, 0xffff, v18
	v_or_b32_e32 v21, 0x10000, v18
	s_delay_alu instid0(VALU_DEP_2) | instskip(NEXT) | instid1(VALU_DEP_1)
	v_cmp_eq_u32_e64 s0, 0, v20
	v_cndmask_b32_e64 v25, v21, v18, s0
; %bb.374:
	s_or_b32 exec_lo, exec_lo, s1
	v_mul_lo_u32 v17, v17, s17
	s_ashr_i32 s0, s14, 31
	v_add_co_u32 v20, s1, s14, v45
	s_delay_alu instid0(VALU_DEP_1) | instskip(SKIP_2) | instid1(VALU_DEP_4)
	v_add_co_ci_u32_e64 v21, null, s0, 0, s1
	v_and_b32_e32 v25, 0xffff0000, v25
	s_mov_b32 s1, 0
	v_ashrrev_i32_e32 v18, 31, v17
	s_delay_alu instid0(VALU_DEP_3) | instskip(NEXT) | instid1(VALU_DEP_2)
	v_lshlrev_b64 v[20:21], 1, v[20:21]
	v_lshlrev_b64 v[17:18], 1, v[17:18]
	s_delay_alu instid0(VALU_DEP_1) | instskip(NEXT) | instid1(VALU_DEP_1)
	v_add_co_u32 v17, s0, s2, v17
	v_add_co_ci_u32_e64 v18, s0, s3, v18, s0
	s_delay_alu instid0(VALU_DEP_2) | instskip(NEXT) | instid1(VALU_DEP_1)
	v_add_co_u32 v17, s0, v17, v20
	v_add_co_ci_u32_e64 v18, s0, v18, v21, s0
	v_and_b32_e32 v21, 0xffff0000, v19
	global_load_b32 v20, v[17:18], off offset:32
	s_branch .LBB12_376
.LBB12_375:                             ;   in Loop: Header=BB12_376 Depth=1
	s_or_b32 exec_lo, exec_lo, s6
	v_lshrrev_b32_e32 v19, 16, v19
	s_delay_alu instid0(VALU_DEP_1) | instskip(SKIP_4) | instid1(VALU_DEP_2)
	v_and_or_b32 v19, 0xffff0000, v27, v19
	global_atomic_cmpswap_b32 v19, v[17:18], v[19:20], off offset:32 glc
	s_waitcnt vmcnt(0)
	v_cmp_eq_u32_e64 s0, v19, v20
	v_mov_b32_e32 v20, v19
	s_or_b32 s1, s0, s1
	s_delay_alu instid0(SALU_CYCLE_1)
	s_and_not1_b32 exec_lo, exec_lo, s1
	s_cbranch_execz .LBB12_384
.LBB12_376:                             ; =>This Inner Loop Header: Depth=1
	s_waitcnt vmcnt(0)
	v_lshlrev_b32_e32 v19, 16, v20
	s_delay_alu instid0(VALU_DEP_1) | instskip(NEXT) | instid1(VALU_DEP_1)
	v_add_f32_e32 v26, v21, v19
	v_and_b32_e32 v19, 0x7f800000, v26
	s_delay_alu instid0(VALU_DEP_1) | instskip(NEXT) | instid1(VALU_DEP_1)
	v_cmp_ne_u32_e64 s0, 0x7f800000, v19
                                        ; implicit-def: $vgpr19
	s_and_saveexec_b32 s6, s0
	s_delay_alu instid0(SALU_CYCLE_1)
	s_xor_b32 s0, exec_lo, s6
; %bb.377:                              ;   in Loop: Header=BB12_376 Depth=1
	v_bfe_u32 v19, v26, 16, 1
	s_delay_alu instid0(VALU_DEP_1)
	v_add3_u32 v19, v26, v19, 0x7fff
                                        ; implicit-def: $vgpr26
; %bb.378:                              ;   in Loop: Header=BB12_376 Depth=1
	s_and_not1_saveexec_b32 s6, s0
; %bb.379:                              ;   in Loop: Header=BB12_376 Depth=1
	v_and_b32_e32 v19, 0xffff, v26
	v_or_b32_e32 v27, 0x10000, v26
	s_delay_alu instid0(VALU_DEP_2) | instskip(NEXT) | instid1(VALU_DEP_1)
	v_cmp_eq_u32_e64 s0, 0, v19
	v_cndmask_b32_e64 v19, v27, v26, s0
; %bb.380:                              ;   in Loop: Header=BB12_376 Depth=1
	s_or_b32 exec_lo, exec_lo, s6
	v_and_b32_e32 v26, 0xffff0000, v20
	s_delay_alu instid0(VALU_DEP_1) | instskip(NEXT) | instid1(VALU_DEP_1)
	v_add_f32_e32 v26, v25, v26
	v_and_b32_e32 v27, 0x7f800000, v26
	s_delay_alu instid0(VALU_DEP_1) | instskip(NEXT) | instid1(VALU_DEP_1)
	v_cmp_ne_u32_e64 s0, 0x7f800000, v27
                                        ; implicit-def: $vgpr27
	s_and_saveexec_b32 s6, s0
	s_delay_alu instid0(SALU_CYCLE_1)
	s_xor_b32 s0, exec_lo, s6
; %bb.381:                              ;   in Loop: Header=BB12_376 Depth=1
	v_bfe_u32 v27, v26, 16, 1
	s_delay_alu instid0(VALU_DEP_1)
	v_add3_u32 v27, v26, v27, 0x7fff
                                        ; implicit-def: $vgpr26
; %bb.382:                              ;   in Loop: Header=BB12_376 Depth=1
	s_and_not1_saveexec_b32 s6, s0
	s_cbranch_execz .LBB12_375
; %bb.383:                              ;   in Loop: Header=BB12_376 Depth=1
	v_and_b32_e32 v27, 0xffff, v26
	v_or_b32_e32 v28, 0x10000, v26
	s_delay_alu instid0(VALU_DEP_2) | instskip(NEXT) | instid1(VALU_DEP_1)
	v_cmp_eq_u32_e64 s0, 0, v27
	v_cndmask_b32_e64 v27, v28, v26, s0
	s_branch .LBB12_375
.LBB12_384:
	s_or_b32 exec_lo, exec_lo, s5
	s_waitcnt lgkmcnt(0)
	ds_bpermute_b32 v18, v30, v22
	s_and_saveexec_b32 s5, vcc_lo
	s_cbranch_execz .LBB12_404
; %bb.385:
	v_or3_b32 v17, v46, v47, 10
	v_cmp_gt_i32_e64 s1, s17, v29
	s_delay_alu instid0(VALU_DEP_2) | instskip(NEXT) | instid1(VALU_DEP_1)
	v_cmp_gt_i32_e64 s0, s16, v17
	s_and_b32 s0, s0, s1
	s_delay_alu instid0(SALU_CYCLE_1)
	s_and_b32 exec_lo, exec_lo, s0
	s_cbranch_execz .LBB12_404
; %bb.386:
	v_and_b32_e32 v19, 0x7f800000, v22
	s_delay_alu instid0(VALU_DEP_1) | instskip(NEXT) | instid1(VALU_DEP_1)
	v_cmp_ne_u32_e64 s0, 0x7f800000, v19
                                        ; implicit-def: $vgpr19
	s_and_saveexec_b32 s1, s0
	s_delay_alu instid0(SALU_CYCLE_1)
	s_xor_b32 s0, exec_lo, s1
; %bb.387:
	v_bfe_u32 v19, v22, 16, 1
	s_delay_alu instid0(VALU_DEP_1)
	v_add3_u32 v19, v22, v19, 0x7fff
; %bb.388:
	s_and_not1_saveexec_b32 s1, s0
; %bb.389:
	v_and_b32_e32 v19, 0xffff, v22
	v_or_b32_e32 v20, 0x10000, v22
	s_delay_alu instid0(VALU_DEP_2) | instskip(NEXT) | instid1(VALU_DEP_1)
	v_cmp_eq_u32_e64 s0, 0, v19
	v_cndmask_b32_e64 v19, v20, v22, s0
; %bb.390:
	s_or_b32 exec_lo, exec_lo, s1
	s_waitcnt lgkmcnt(0)
	v_and_b32_e32 v20, 0x7f800000, v18
                                        ; implicit-def: $vgpr22
	s_delay_alu instid0(VALU_DEP_1) | instskip(NEXT) | instid1(VALU_DEP_1)
	v_cmp_ne_u32_e64 s0, 0x7f800000, v20
	s_and_saveexec_b32 s1, s0
	s_delay_alu instid0(SALU_CYCLE_1)
	s_xor_b32 s0, exec_lo, s1
; %bb.391:
	v_bfe_u32 v20, v18, 16, 1
	s_delay_alu instid0(VALU_DEP_1)
	v_add3_u32 v22, v18, v20, 0x7fff
                                        ; implicit-def: $vgpr18
; %bb.392:
	s_and_not1_saveexec_b32 s1, s0
; %bb.393:
	v_and_b32_e32 v20, 0xffff, v18
	v_or_b32_e32 v21, 0x10000, v18
	s_delay_alu instid0(VALU_DEP_2) | instskip(NEXT) | instid1(VALU_DEP_1)
	v_cmp_eq_u32_e64 s0, 0, v20
	v_cndmask_b32_e64 v22, v21, v18, s0
; %bb.394:
	s_or_b32 exec_lo, exec_lo, s1
	v_mul_lo_u32 v17, v17, s17
	s_ashr_i32 s0, s14, 31
	v_add_co_u32 v20, s1, s14, v45
	s_delay_alu instid0(VALU_DEP_1) | instskip(SKIP_2) | instid1(VALU_DEP_4)
	v_add_co_ci_u32_e64 v21, null, s0, 0, s1
	v_and_b32_e32 v22, 0xffff0000, v22
	s_mov_b32 s1, 0
	v_ashrrev_i32_e32 v18, 31, v17
	s_delay_alu instid0(VALU_DEP_3) | instskip(NEXT) | instid1(VALU_DEP_2)
	v_lshlrev_b64 v[20:21], 1, v[20:21]
	v_lshlrev_b64 v[17:18], 1, v[17:18]
	s_delay_alu instid0(VALU_DEP_1) | instskip(NEXT) | instid1(VALU_DEP_1)
	v_add_co_u32 v17, s0, s2, v17
	v_add_co_ci_u32_e64 v18, s0, s3, v18, s0
	s_delay_alu instid0(VALU_DEP_2) | instskip(NEXT) | instid1(VALU_DEP_1)
	v_add_co_u32 v17, s0, v17, v20
	v_add_co_ci_u32_e64 v18, s0, v18, v21, s0
	v_and_b32_e32 v21, 0xffff0000, v19
	global_load_b32 v20, v[17:18], off offset:32
	s_branch .LBB12_396
.LBB12_395:                             ;   in Loop: Header=BB12_396 Depth=1
	s_or_b32 exec_lo, exec_lo, s6
	v_lshrrev_b32_e32 v19, 16, v19
	s_delay_alu instid0(VALU_DEP_1) | instskip(SKIP_4) | instid1(VALU_DEP_2)
	v_and_or_b32 v19, 0xffff0000, v26, v19
	global_atomic_cmpswap_b32 v19, v[17:18], v[19:20], off offset:32 glc
	s_waitcnt vmcnt(0)
	v_cmp_eq_u32_e64 s0, v19, v20
	v_mov_b32_e32 v20, v19
	s_or_b32 s1, s0, s1
	s_delay_alu instid0(SALU_CYCLE_1)
	s_and_not1_b32 exec_lo, exec_lo, s1
	s_cbranch_execz .LBB12_404
.LBB12_396:                             ; =>This Inner Loop Header: Depth=1
	s_waitcnt vmcnt(0)
	v_lshlrev_b32_e32 v19, 16, v20
	s_delay_alu instid0(VALU_DEP_1) | instskip(NEXT) | instid1(VALU_DEP_1)
	v_add_f32_e32 v25, v21, v19
	v_and_b32_e32 v19, 0x7f800000, v25
	s_delay_alu instid0(VALU_DEP_1) | instskip(NEXT) | instid1(VALU_DEP_1)
	v_cmp_ne_u32_e64 s0, 0x7f800000, v19
                                        ; implicit-def: $vgpr19
	s_and_saveexec_b32 s6, s0
	s_delay_alu instid0(SALU_CYCLE_1)
	s_xor_b32 s0, exec_lo, s6
; %bb.397:                              ;   in Loop: Header=BB12_396 Depth=1
	v_bfe_u32 v19, v25, 16, 1
	s_delay_alu instid0(VALU_DEP_1)
	v_add3_u32 v19, v25, v19, 0x7fff
                                        ; implicit-def: $vgpr25
; %bb.398:                              ;   in Loop: Header=BB12_396 Depth=1
	s_and_not1_saveexec_b32 s6, s0
; %bb.399:                              ;   in Loop: Header=BB12_396 Depth=1
	v_and_b32_e32 v19, 0xffff, v25
	v_or_b32_e32 v26, 0x10000, v25
	s_delay_alu instid0(VALU_DEP_2) | instskip(NEXT) | instid1(VALU_DEP_1)
	v_cmp_eq_u32_e64 s0, 0, v19
	v_cndmask_b32_e64 v19, v26, v25, s0
; %bb.400:                              ;   in Loop: Header=BB12_396 Depth=1
	s_or_b32 exec_lo, exec_lo, s6
	v_and_b32_e32 v25, 0xffff0000, v20
	s_delay_alu instid0(VALU_DEP_1) | instskip(NEXT) | instid1(VALU_DEP_1)
	v_add_f32_e32 v25, v22, v25
	v_and_b32_e32 v26, 0x7f800000, v25
	s_delay_alu instid0(VALU_DEP_1) | instskip(NEXT) | instid1(VALU_DEP_1)
	v_cmp_ne_u32_e64 s0, 0x7f800000, v26
                                        ; implicit-def: $vgpr26
	s_and_saveexec_b32 s6, s0
	s_delay_alu instid0(SALU_CYCLE_1)
	s_xor_b32 s0, exec_lo, s6
; %bb.401:                              ;   in Loop: Header=BB12_396 Depth=1
	v_bfe_u32 v26, v25, 16, 1
	s_delay_alu instid0(VALU_DEP_1)
	v_add3_u32 v26, v25, v26, 0x7fff
                                        ; implicit-def: $vgpr25
; %bb.402:                              ;   in Loop: Header=BB12_396 Depth=1
	s_and_not1_saveexec_b32 s6, s0
	s_cbranch_execz .LBB12_395
; %bb.403:                              ;   in Loop: Header=BB12_396 Depth=1
	v_and_b32_e32 v26, 0xffff, v25
	v_or_b32_e32 v27, 0x10000, v25
	s_delay_alu instid0(VALU_DEP_2) | instskip(NEXT) | instid1(VALU_DEP_1)
	v_cmp_eq_u32_e64 s0, 0, v26
	v_cndmask_b32_e64 v26, v27, v25, s0
	s_branch .LBB12_395
.LBB12_404:
	s_or_b32 exec_lo, exec_lo, s5
	s_waitcnt lgkmcnt(0)
	ds_bpermute_b32 v18, v30, v23
	s_and_saveexec_b32 s5, vcc_lo
	s_cbranch_execz .LBB12_424
; %bb.405:
	v_or3_b32 v17, v46, v47, 12
	v_cmp_gt_i32_e64 s1, s17, v29
	s_delay_alu instid0(VALU_DEP_2) | instskip(NEXT) | instid1(VALU_DEP_1)
	v_cmp_gt_i32_e64 s0, s16, v17
	s_and_b32 s0, s0, s1
	s_delay_alu instid0(SALU_CYCLE_1)
	s_and_b32 exec_lo, exec_lo, s0
	s_cbranch_execz .LBB12_424
; %bb.406:
	v_and_b32_e32 v19, 0x7f800000, v23
	s_delay_alu instid0(VALU_DEP_1) | instskip(NEXT) | instid1(VALU_DEP_1)
	v_cmp_ne_u32_e64 s0, 0x7f800000, v19
                                        ; implicit-def: $vgpr19
	s_and_saveexec_b32 s1, s0
	s_delay_alu instid0(SALU_CYCLE_1)
	s_xor_b32 s0, exec_lo, s1
; %bb.407:
	v_bfe_u32 v19, v23, 16, 1
	s_delay_alu instid0(VALU_DEP_1)
	v_add3_u32 v19, v23, v19, 0x7fff
; %bb.408:
	s_and_not1_saveexec_b32 s1, s0
; %bb.409:
	v_and_b32_e32 v19, 0xffff, v23
	v_or_b32_e32 v20, 0x10000, v23
	s_delay_alu instid0(VALU_DEP_2) | instskip(NEXT) | instid1(VALU_DEP_1)
	v_cmp_eq_u32_e64 s0, 0, v19
	v_cndmask_b32_e64 v19, v20, v23, s0
; %bb.410:
	s_or_b32 exec_lo, exec_lo, s1
	s_waitcnt lgkmcnt(0)
	v_and_b32_e32 v20, 0x7f800000, v18
                                        ; implicit-def: $vgpr22
	s_delay_alu instid0(VALU_DEP_1) | instskip(NEXT) | instid1(VALU_DEP_1)
	v_cmp_ne_u32_e64 s0, 0x7f800000, v20
	s_and_saveexec_b32 s1, s0
	s_delay_alu instid0(SALU_CYCLE_1)
	s_xor_b32 s0, exec_lo, s1
; %bb.411:
	v_bfe_u32 v20, v18, 16, 1
	s_delay_alu instid0(VALU_DEP_1)
	v_add3_u32 v22, v18, v20, 0x7fff
                                        ; implicit-def: $vgpr18
; %bb.412:
	s_and_not1_saveexec_b32 s1, s0
; %bb.413:
	v_and_b32_e32 v20, 0xffff, v18
	v_or_b32_e32 v21, 0x10000, v18
	s_delay_alu instid0(VALU_DEP_2) | instskip(NEXT) | instid1(VALU_DEP_1)
	v_cmp_eq_u32_e64 s0, 0, v20
	v_cndmask_b32_e64 v22, v21, v18, s0
; %bb.414:
	s_or_b32 exec_lo, exec_lo, s1
	v_mul_lo_u32 v17, v17, s17
	s_ashr_i32 s0, s14, 31
	v_add_co_u32 v20, s1, s14, v45
	s_delay_alu instid0(VALU_DEP_1) | instskip(SKIP_2) | instid1(VALU_DEP_4)
	v_add_co_ci_u32_e64 v21, null, s0, 0, s1
	v_and_b32_e32 v22, 0xffff0000, v22
	s_mov_b32 s1, 0
	v_ashrrev_i32_e32 v18, 31, v17
	s_delay_alu instid0(VALU_DEP_3) | instskip(NEXT) | instid1(VALU_DEP_2)
	v_lshlrev_b64 v[20:21], 1, v[20:21]
	v_lshlrev_b64 v[17:18], 1, v[17:18]
	s_delay_alu instid0(VALU_DEP_1) | instskip(NEXT) | instid1(VALU_DEP_1)
	v_add_co_u32 v17, s0, s2, v17
	v_add_co_ci_u32_e64 v18, s0, s3, v18, s0
	s_delay_alu instid0(VALU_DEP_2) | instskip(NEXT) | instid1(VALU_DEP_1)
	v_add_co_u32 v17, s0, v17, v20
	v_add_co_ci_u32_e64 v18, s0, v18, v21, s0
	v_and_b32_e32 v21, 0xffff0000, v19
	global_load_b32 v20, v[17:18], off offset:32
	s_branch .LBB12_416
.LBB12_415:                             ;   in Loop: Header=BB12_416 Depth=1
	s_or_b32 exec_lo, exec_lo, s6
	v_lshrrev_b32_e32 v19, 16, v19
	s_delay_alu instid0(VALU_DEP_1) | instskip(SKIP_4) | instid1(VALU_DEP_2)
	v_and_or_b32 v19, 0xffff0000, v25, v19
	global_atomic_cmpswap_b32 v19, v[17:18], v[19:20], off offset:32 glc
	s_waitcnt vmcnt(0)
	v_cmp_eq_u32_e64 s0, v19, v20
	v_mov_b32_e32 v20, v19
	s_or_b32 s1, s0, s1
	s_delay_alu instid0(SALU_CYCLE_1)
	s_and_not1_b32 exec_lo, exec_lo, s1
	s_cbranch_execz .LBB12_424
.LBB12_416:                             ; =>This Inner Loop Header: Depth=1
	s_waitcnt vmcnt(0)
	v_lshlrev_b32_e32 v19, 16, v20
	s_delay_alu instid0(VALU_DEP_1) | instskip(NEXT) | instid1(VALU_DEP_1)
	v_add_f32_e32 v23, v21, v19
	v_and_b32_e32 v19, 0x7f800000, v23
	s_delay_alu instid0(VALU_DEP_1) | instskip(NEXT) | instid1(VALU_DEP_1)
	v_cmp_ne_u32_e64 s0, 0x7f800000, v19
                                        ; implicit-def: $vgpr19
	s_and_saveexec_b32 s6, s0
	s_delay_alu instid0(SALU_CYCLE_1)
	s_xor_b32 s0, exec_lo, s6
; %bb.417:                              ;   in Loop: Header=BB12_416 Depth=1
	v_bfe_u32 v19, v23, 16, 1
	s_delay_alu instid0(VALU_DEP_1)
	v_add3_u32 v19, v23, v19, 0x7fff
                                        ; implicit-def: $vgpr23
; %bb.418:                              ;   in Loop: Header=BB12_416 Depth=1
	s_and_not1_saveexec_b32 s6, s0
; %bb.419:                              ;   in Loop: Header=BB12_416 Depth=1
	v_and_b32_e32 v19, 0xffff, v23
	v_or_b32_e32 v25, 0x10000, v23
	s_delay_alu instid0(VALU_DEP_2) | instskip(NEXT) | instid1(VALU_DEP_1)
	v_cmp_eq_u32_e64 s0, 0, v19
	v_cndmask_b32_e64 v19, v25, v23, s0
; %bb.420:                              ;   in Loop: Header=BB12_416 Depth=1
	s_or_b32 exec_lo, exec_lo, s6
	v_and_b32_e32 v23, 0xffff0000, v20
	s_delay_alu instid0(VALU_DEP_1) | instskip(NEXT) | instid1(VALU_DEP_1)
	v_add_f32_e32 v23, v22, v23
	v_and_b32_e32 v25, 0x7f800000, v23
	s_delay_alu instid0(VALU_DEP_1) | instskip(NEXT) | instid1(VALU_DEP_1)
	v_cmp_ne_u32_e64 s0, 0x7f800000, v25
                                        ; implicit-def: $vgpr25
	s_and_saveexec_b32 s6, s0
	s_delay_alu instid0(SALU_CYCLE_1)
	s_xor_b32 s0, exec_lo, s6
; %bb.421:                              ;   in Loop: Header=BB12_416 Depth=1
	v_bfe_u32 v25, v23, 16, 1
	s_delay_alu instid0(VALU_DEP_1)
	v_add3_u32 v25, v23, v25, 0x7fff
                                        ; implicit-def: $vgpr23
; %bb.422:                              ;   in Loop: Header=BB12_416 Depth=1
	s_and_not1_saveexec_b32 s6, s0
	s_cbranch_execz .LBB12_415
; %bb.423:                              ;   in Loop: Header=BB12_416 Depth=1
	v_and_b32_e32 v25, 0xffff, v23
	v_or_b32_e32 v26, 0x10000, v23
	s_delay_alu instid0(VALU_DEP_2) | instskip(NEXT) | instid1(VALU_DEP_1)
	v_cmp_eq_u32_e64 s0, 0, v25
	v_cndmask_b32_e64 v25, v26, v23, s0
	s_branch .LBB12_415
.LBB12_424:
	s_or_b32 exec_lo, exec_lo, s5
	ds_bpermute_b32 v27, v30, v24
	s_and_saveexec_b32 s1, vcc_lo
	s_cbranch_execz .LBB12_444
; %bb.425:
	v_or3_b32 v26, v46, v47, 14
	v_cmp_gt_i32_e64 s0, s17, v29
	s_delay_alu instid0(VALU_DEP_2) | instskip(NEXT) | instid1(VALU_DEP_2)
	v_cmp_gt_i32_e32 vcc_lo, s16, v26
	s_and_b32 s0, vcc_lo, s0
	s_delay_alu instid0(SALU_CYCLE_1)
	s_and_b32 exec_lo, exec_lo, s0
	s_cbranch_execz .LBB12_444
; %bb.426:
	v_and_b32_e32 v17, 0x7f800000, v24
	s_mov_b32 s0, exec_lo
                                        ; implicit-def: $vgpr25
	s_delay_alu instid0(VALU_DEP_1)
	v_cmpx_ne_u32_e32 0x7f800000, v17
	s_xor_b32 s0, exec_lo, s0
; %bb.427:
	v_bfe_u32 v17, v24, 16, 1
	s_delay_alu instid0(VALU_DEP_1)
	v_add3_u32 v25, v24, v17, 0x7fff
                                        ; implicit-def: $vgpr17_vgpr18_vgpr19_vgpr20_vgpr21_vgpr22_vgpr23_vgpr24
; %bb.428:
	s_and_not1_saveexec_b32 s0, s0
	s_cbranch_execz .LBB12_430
; %bb.429:
	v_and_b32_e32 v17, 0xffff, v24
	s_waitcnt lgkmcnt(1)
	v_or_b32_e32 v18, 0x10000, v24
	s_delay_alu instid0(VALU_DEP_2) | instskip(NEXT) | instid1(VALU_DEP_2)
	v_cmp_eq_u32_e32 vcc_lo, 0, v17
	v_cndmask_b32_e32 v25, v18, v24, vcc_lo
.LBB12_430:
	s_or_b32 exec_lo, exec_lo, s0
	s_waitcnt lgkmcnt(0)
	v_and_b32_e32 v17, 0x7f800000, v27
	s_mov_b32 s0, exec_lo
                                        ; implicit-def: $vgpr19
	s_delay_alu instid0(VALU_DEP_1)
	v_cmpx_ne_u32_e32 0x7f800000, v17
	s_xor_b32 s0, exec_lo, s0
; %bb.431:
	v_bfe_u32 v17, v27, 16, 1
	s_delay_alu instid0(VALU_DEP_1)
	v_add3_u32 v19, v27, v17, 0x7fff
                                        ; implicit-def: $vgpr27
; %bb.432:
	s_and_not1_saveexec_b32 s0, s0
; %bb.433:
	v_and_b32_e32 v17, 0xffff, v27
	v_or_b32_e32 v18, 0x10000, v27
	s_delay_alu instid0(VALU_DEP_2) | instskip(NEXT) | instid1(VALU_DEP_2)
	v_cmp_eq_u32_e32 vcc_lo, 0, v17
	v_cndmask_b32_e32 v19, v18, v27, vcc_lo
; %bb.434:
	s_or_b32 exec_lo, exec_lo, s0
	v_mul_lo_u32 v17, v26, s17
	s_ashr_i32 s0, s14, 31
	v_add_co_u32 v20, s5, s14, v45
	s_delay_alu instid0(VALU_DEP_1) | instskip(SKIP_2) | instid1(VALU_DEP_4)
	v_add_co_ci_u32_e64 v21, null, s0, 0, s5
	v_and_b32_e32 v22, 0xffff0000, v19
	s_mov_b32 s0, 0
	v_ashrrev_i32_e32 v18, 31, v17
	s_delay_alu instid0(VALU_DEP_3) | instskip(NEXT) | instid1(VALU_DEP_2)
	v_lshlrev_b64 v[20:21], 1, v[20:21]
	v_lshlrev_b64 v[17:18], 1, v[17:18]
	s_delay_alu instid0(VALU_DEP_1) | instskip(NEXT) | instid1(VALU_DEP_2)
	v_add_co_u32 v17, vcc_lo, s2, v17
	v_add_co_ci_u32_e32 v18, vcc_lo, s3, v18, vcc_lo
	s_delay_alu instid0(VALU_DEP_2) | instskip(NEXT) | instid1(VALU_DEP_2)
	v_add_co_u32 v17, vcc_lo, v17, v20
	v_add_co_ci_u32_e32 v18, vcc_lo, v18, v21, vcc_lo
	v_and_b32_e32 v21, 0xffff0000, v25
	global_load_b32 v20, v[17:18], off offset:32
	s_branch .LBB12_436
.LBB12_435:                             ;   in Loop: Header=BB12_436 Depth=1
	s_or_b32 exec_lo, exec_lo, s5
	v_lshrrev_b32_e32 v19, 16, v19
	s_delay_alu instid0(VALU_DEP_1)
	v_and_or_b32 v19, 0xffff0000, v24, v19
	global_atomic_cmpswap_b32 v19, v[17:18], v[19:20], off offset:32 glc
	s_waitcnt vmcnt(0)
	v_cmp_eq_u32_e32 vcc_lo, v19, v20
	v_mov_b32_e32 v20, v19
	s_or_b32 s0, vcc_lo, s0
	s_delay_alu instid0(SALU_CYCLE_1)
	s_and_not1_b32 exec_lo, exec_lo, s0
	s_cbranch_execz .LBB12_444
.LBB12_436:                             ; =>This Inner Loop Header: Depth=1
	s_waitcnt vmcnt(0)
	v_lshlrev_b32_e32 v19, 16, v20
	s_delay_alu instid0(VALU_DEP_1) | instskip(NEXT) | instid1(VALU_DEP_1)
	v_add_f32_e32 v23, v21, v19
	v_and_b32_e32 v19, 0x7f800000, v23
	s_delay_alu instid0(VALU_DEP_1) | instskip(SKIP_1) | instid1(SALU_CYCLE_1)
	v_cmp_ne_u32_e32 vcc_lo, 0x7f800000, v19
                                        ; implicit-def: $vgpr19
	s_and_saveexec_b32 s5, vcc_lo
	s_xor_b32 s5, exec_lo, s5
; %bb.437:                              ;   in Loop: Header=BB12_436 Depth=1
	v_bfe_u32 v19, v23, 16, 1
	s_delay_alu instid0(VALU_DEP_1)
	v_add3_u32 v19, v23, v19, 0x7fff
                                        ; implicit-def: $vgpr23
; %bb.438:                              ;   in Loop: Header=BB12_436 Depth=1
	s_and_not1_saveexec_b32 s5, s5
; %bb.439:                              ;   in Loop: Header=BB12_436 Depth=1
	v_and_b32_e32 v19, 0xffff, v23
	v_or_b32_e32 v24, 0x10000, v23
	s_delay_alu instid0(VALU_DEP_2) | instskip(NEXT) | instid1(VALU_DEP_2)
	v_cmp_eq_u32_e32 vcc_lo, 0, v19
	v_cndmask_b32_e32 v19, v24, v23, vcc_lo
; %bb.440:                              ;   in Loop: Header=BB12_436 Depth=1
	s_or_b32 exec_lo, exec_lo, s5
	v_and_b32_e32 v23, 0xffff0000, v20
	s_delay_alu instid0(VALU_DEP_1) | instskip(NEXT) | instid1(VALU_DEP_1)
	v_add_f32_e32 v23, v22, v23
	v_and_b32_e32 v24, 0x7f800000, v23
	s_delay_alu instid0(VALU_DEP_1) | instskip(SKIP_1) | instid1(SALU_CYCLE_1)
	v_cmp_ne_u32_e32 vcc_lo, 0x7f800000, v24
                                        ; implicit-def: $vgpr24
	s_and_saveexec_b32 s5, vcc_lo
	s_xor_b32 s5, exec_lo, s5
; %bb.441:                              ;   in Loop: Header=BB12_436 Depth=1
	v_bfe_u32 v24, v23, 16, 1
	s_delay_alu instid0(VALU_DEP_1)
	v_add3_u32 v24, v23, v24, 0x7fff
                                        ; implicit-def: $vgpr23
; %bb.442:                              ;   in Loop: Header=BB12_436 Depth=1
	s_and_not1_saveexec_b32 s5, s5
	s_cbranch_execz .LBB12_435
; %bb.443:                              ;   in Loop: Header=BB12_436 Depth=1
	v_and_b32_e32 v24, 0xffff, v23
	v_or_b32_e32 v25, 0x10000, v23
	s_delay_alu instid0(VALU_DEP_2) | instskip(NEXT) | instid1(VALU_DEP_2)
	v_cmp_eq_u32_e32 vcc_lo, 0, v24
	v_cndmask_b32_e32 v24, v25, v23, vcc_lo
	s_branch .LBB12_435
.LBB12_444:
	s_or_b32 exec_lo, exec_lo, s1
	s_or_b32 s0, s14, 32
	s_and_b32 vcc_lo, exec_lo, s4
	s_mov_b32 s1, -1
	s_cbranch_vccz .LBB12_20
.LBB12_445:
	v_or_b32_e32 v17, s0, v45
	s_mov_b32 s1, exec_lo
	s_delay_alu instid0(VALU_DEP_1)
	v_cmpx_gt_i32_e64 s17, v17
	s_cbranch_execz .LBB12_494
; %bb.446:
	v_or_b32_e32 v17, v47, v46
	s_mov_b32 s5, exec_lo
	s_delay_alu instid0(VALU_DEP_1)
	v_cmpx_gt_i32_e64 s16, v17
	s_cbranch_execz .LBB12_452
; %bb.447:
	s_waitcnt lgkmcnt(1)
	v_and_b32_e32 v18, 0x7f800000, v9
	s_delay_alu instid0(VALU_DEP_1) | instskip(SKIP_1) | instid1(SALU_CYCLE_1)
	v_cmp_ne_u32_e32 vcc_lo, 0x7f800000, v18
                                        ; implicit-def: $vgpr18
	s_and_saveexec_b32 s6, vcc_lo
	s_xor_b32 s6, exec_lo, s6
; %bb.448:
	v_bfe_u32 v18, v9, 16, 1
	s_delay_alu instid0(VALU_DEP_1)
	v_add3_u32 v18, v9, v18, 0x7fff
; %bb.449:
	s_and_not1_saveexec_b32 s6, s6
; %bb.450:
	v_and_b32_e32 v18, 0xffff, v9
	v_or_b32_e32 v19, 0x10000, v9
	s_delay_alu instid0(VALU_DEP_2) | instskip(NEXT) | instid1(VALU_DEP_2)
	v_cmp_eq_u32_e32 vcc_lo, 0, v18
	v_cndmask_b32_e32 v18, v19, v9, vcc_lo
; %bb.451:
	s_or_b32 exec_lo, exec_lo, s6
	v_mul_lo_u32 v19, v17, s17
	s_ashr_i32 s6, s14, 31
	v_add_co_u32 v21, s7, s14, v45
	s_delay_alu instid0(VALU_DEP_1) | instskip(NEXT) | instid1(VALU_DEP_3)
	v_add_co_ci_u32_e64 v22, null, s6, 0, s7
	v_ashrrev_i32_e32 v20, 31, v19
	s_delay_alu instid0(VALU_DEP_2) | instskip(NEXT) | instid1(VALU_DEP_2)
	v_lshlrev_b64 v[21:22], 1, v[21:22]
	v_lshlrev_b64 v[19:20], 1, v[19:20]
	s_delay_alu instid0(VALU_DEP_1) | instskip(NEXT) | instid1(VALU_DEP_2)
	v_add_co_u32 v19, vcc_lo, s2, v19
	v_add_co_ci_u32_e32 v20, vcc_lo, s3, v20, vcc_lo
	s_delay_alu instid0(VALU_DEP_2) | instskip(NEXT) | instid1(VALU_DEP_2)
	v_add_co_u32 v19, vcc_lo, v19, v21
	v_add_co_ci_u32_e32 v20, vcc_lo, v20, v22, vcc_lo
	global_store_d16_hi_b16 v[19:20], v18, off offset:64
.LBB12_452:
	s_or_b32 exec_lo, exec_lo, s5
	v_or_b32_e32 v19, 2, v17
	s_mov_b32 s5, exec_lo
	s_delay_alu instid0(VALU_DEP_1)
	v_cmpx_gt_i32_e64 s16, v19
	s_cbranch_execz .LBB12_458
; %bb.453:
	s_waitcnt lgkmcnt(1)
	v_and_b32_e32 v18, 0x7f800000, v10
	s_delay_alu instid0(VALU_DEP_1) | instskip(SKIP_1) | instid1(SALU_CYCLE_1)
	v_cmp_ne_u32_e32 vcc_lo, 0x7f800000, v18
                                        ; implicit-def: $vgpr18
	s_and_saveexec_b32 s6, vcc_lo
	s_xor_b32 s6, exec_lo, s6
; %bb.454:
	v_bfe_u32 v18, v10, 16, 1
	s_delay_alu instid0(VALU_DEP_1)
	v_add3_u32 v18, v10, v18, 0x7fff
; %bb.455:
	s_and_not1_saveexec_b32 s6, s6
; %bb.456:
	v_and_b32_e32 v18, 0xffff, v10
	v_or_b32_e32 v20, 0x10000, v10
	s_delay_alu instid0(VALU_DEP_2) | instskip(NEXT) | instid1(VALU_DEP_2)
	v_cmp_eq_u32_e32 vcc_lo, 0, v18
	v_cndmask_b32_e32 v18, v20, v10, vcc_lo
; %bb.457:
	s_or_b32 exec_lo, exec_lo, s6
	v_mul_lo_u32 v19, v19, s17
	s_ashr_i32 s6, s14, 31
	v_add_co_u32 v21, s7, s14, v45
	s_delay_alu instid0(VALU_DEP_1) | instskip(NEXT) | instid1(VALU_DEP_3)
	v_add_co_ci_u32_e64 v22, null, s6, 0, s7
	v_ashrrev_i32_e32 v20, 31, v19
	s_delay_alu instid0(VALU_DEP_2) | instskip(NEXT) | instid1(VALU_DEP_2)
	v_lshlrev_b64 v[21:22], 1, v[21:22]
	v_lshlrev_b64 v[19:20], 1, v[19:20]
	s_delay_alu instid0(VALU_DEP_1) | instskip(NEXT) | instid1(VALU_DEP_2)
	v_add_co_u32 v19, vcc_lo, s2, v19
	v_add_co_ci_u32_e32 v20, vcc_lo, s3, v20, vcc_lo
	s_delay_alu instid0(VALU_DEP_2) | instskip(NEXT) | instid1(VALU_DEP_2)
	v_add_co_u32 v19, vcc_lo, v19, v21
	v_add_co_ci_u32_e32 v20, vcc_lo, v20, v22, vcc_lo
	global_store_d16_hi_b16 v[19:20], v18, off offset:64
.LBB12_458:
	s_or_b32 exec_lo, exec_lo, s5
	;; [unrolled: 45-line block ×7, first 2 shown]
	s_waitcnt lgkmcnt(1)
	v_or_b32_e32 v18, 14, v17
	s_delay_alu instid0(VALU_DEP_1)
	v_cmp_gt_i32_e32 vcc_lo, s16, v18
	s_and_b32 exec_lo, exec_lo, vcc_lo
	s_cbranch_execz .LBB12_494
; %bb.489:
	v_and_b32_e32 v17, 0x7f800000, v16
	s_delay_alu instid0(VALU_DEP_1) | instskip(SKIP_1) | instid1(SALU_CYCLE_1)
	v_cmp_ne_u32_e32 vcc_lo, 0x7f800000, v17
                                        ; implicit-def: $vgpr17
	s_and_saveexec_b32 s5, vcc_lo
	s_xor_b32 s5, exec_lo, s5
; %bb.490:
	v_bfe_u32 v17, v16, 16, 1
	s_delay_alu instid0(VALU_DEP_1)
	v_add3_u32 v17, v16, v17, 0x7fff
; %bb.491:
	s_and_not1_saveexec_b32 s5, s5
; %bb.492:
	v_and_b32_e32 v17, 0xffff, v16
	v_or_b32_e32 v19, 0x10000, v16
	s_delay_alu instid0(VALU_DEP_2) | instskip(NEXT) | instid1(VALU_DEP_2)
	v_cmp_eq_u32_e32 vcc_lo, 0, v17
	v_cndmask_b32_e32 v17, v19, v16, vcc_lo
; %bb.493:
	s_or_b32 exec_lo, exec_lo, s5
	v_mul_lo_u32 v18, v18, s17
	s_ashr_i32 s5, s14, 31
	v_add_co_u32 v20, s6, s14, v45
	s_delay_alu instid0(VALU_DEP_1) | instskip(NEXT) | instid1(VALU_DEP_3)
	v_add_co_ci_u32_e64 v21, null, s5, 0, s6
	v_ashrrev_i32_e32 v19, 31, v18
	s_delay_alu instid0(VALU_DEP_2) | instskip(NEXT) | instid1(VALU_DEP_2)
	v_lshlrev_b64 v[20:21], 1, v[20:21]
	v_lshlrev_b64 v[18:19], 1, v[18:19]
	s_delay_alu instid0(VALU_DEP_1) | instskip(NEXT) | instid1(VALU_DEP_2)
	v_add_co_u32 v18, vcc_lo, s2, v18
	v_add_co_ci_u32_e32 v19, vcc_lo, s3, v19, vcc_lo
	s_delay_alu instid0(VALU_DEP_2) | instskip(NEXT) | instid1(VALU_DEP_2)
	v_add_co_u32 v18, vcc_lo, v18, v20
	v_add_co_ci_u32_e32 v19, vcc_lo, v19, v21, vcc_lo
	global_store_d16_hi_b16 v[18:19], v17, off offset:64
.LBB12_494:
	s_or_b32 exec_lo, exec_lo, s1
	s_cbranch_execnz .LBB12_21
.LBB12_495:
	v_mbcnt_lo_u32_b32 v17, -1, 0
	v_or_b32_e32 v21, s0, v45
	s_waitcnt lgkmcnt(1)
	s_delay_alu instid0(VALU_DEP_2) | instskip(NEXT) | instid1(VALU_DEP_1)
	v_xor_b32_e32 v18, 1, v17
	v_cmp_gt_i32_e32 vcc_lo, 32, v18
	v_dual_cndmask_b32 v17, v17, v18 :: v_dual_and_b32 v18, 1, v0
	s_delay_alu instid0(VALU_DEP_1) | instskip(NEXT) | instid1(VALU_DEP_2)
	v_lshlrev_b32_e32 v22, 2, v17
	v_cmp_eq_u32_e32 vcc_lo, 0, v18
	ds_bpermute_b32 v17, v22, v9
	s_and_saveexec_b32 s5, vcc_lo
	s_cbranch_execz .LBB12_515
; %bb.496:
	v_or_b32_e32 v18, v47, v46
	v_cmp_gt_i32_e64 s1, s17, v21
	s_delay_alu instid0(VALU_DEP_2) | instskip(NEXT) | instid1(VALU_DEP_1)
	v_cmp_gt_i32_e64 s0, s16, v18
	s_and_b32 s0, s0, s1
	s_delay_alu instid0(SALU_CYCLE_1)
	s_and_b32 exec_lo, exec_lo, s0
	s_cbranch_execz .LBB12_515
; %bb.497:
	v_and_b32_e32 v19, 0x7f800000, v9
	s_delay_alu instid0(VALU_DEP_1) | instskip(NEXT) | instid1(VALU_DEP_1)
	v_cmp_ne_u32_e64 s0, 0x7f800000, v19
                                        ; implicit-def: $vgpr19
	s_and_saveexec_b32 s1, s0
	s_delay_alu instid0(SALU_CYCLE_1)
	s_xor_b32 s0, exec_lo, s1
; %bb.498:
	v_bfe_u32 v19, v9, 16, 1
	s_delay_alu instid0(VALU_DEP_1)
	v_add3_u32 v19, v9, v19, 0x7fff
; %bb.499:
	s_and_not1_saveexec_b32 s1, s0
; %bb.500:
	v_and_b32_e32 v19, 0xffff, v9
	v_or_b32_e32 v20, 0x10000, v9
	s_delay_alu instid0(VALU_DEP_2) | instskip(NEXT) | instid1(VALU_DEP_1)
	v_cmp_eq_u32_e64 s0, 0, v19
	v_cndmask_b32_e64 v19, v20, v9, s0
; %bb.501:
	s_or_b32 exec_lo, exec_lo, s1
	s_waitcnt lgkmcnt(0)
	v_and_b32_e32 v9, 0x7f800000, v17
                                        ; implicit-def: $vgpr23
	s_delay_alu instid0(VALU_DEP_1) | instskip(NEXT) | instid1(VALU_DEP_1)
	v_cmp_ne_u32_e64 s0, 0x7f800000, v9
	s_and_saveexec_b32 s1, s0
	s_delay_alu instid0(SALU_CYCLE_1)
	s_xor_b32 s0, exec_lo, s1
; %bb.502:
	v_bfe_u32 v9, v17, 16, 1
	s_delay_alu instid0(VALU_DEP_1)
	v_add3_u32 v23, v17, v9, 0x7fff
                                        ; implicit-def: $vgpr17
; %bb.503:
	s_and_not1_saveexec_b32 s1, s0
; %bb.504:
	v_and_b32_e32 v9, 0xffff, v17
	v_or_b32_e32 v20, 0x10000, v17
	s_delay_alu instid0(VALU_DEP_2) | instskip(NEXT) | instid1(VALU_DEP_1)
	v_cmp_eq_u32_e64 s0, 0, v9
	v_cndmask_b32_e64 v23, v20, v17, s0
; %bb.505:
	s_or_b32 exec_lo, exec_lo, s1
	v_mul_lo_u32 v17, v18, s17
	s_ashr_i32 s0, s14, 31
	v_add_co_u32 v24, s1, s14, v45
	s_delay_alu instid0(VALU_DEP_1) | instskip(SKIP_2) | instid1(VALU_DEP_4)
	v_add_co_ci_u32_e64 v25, null, s0, 0, s1
	v_and_b32_e32 v23, 0xffff0000, v23
	s_mov_b32 s1, 0
	v_ashrrev_i32_e32 v18, 31, v17
	s_delay_alu instid0(VALU_DEP_3) | instskip(NEXT) | instid1(VALU_DEP_2)
	v_lshlrev_b64 v[24:25], 1, v[24:25]
	v_lshlrev_b64 v[17:18], 1, v[17:18]
	s_delay_alu instid0(VALU_DEP_1) | instskip(NEXT) | instid1(VALU_DEP_1)
	v_add_co_u32 v9, s0, s2, v17
	v_add_co_ci_u32_e64 v18, s0, s3, v18, s0
	s_delay_alu instid0(VALU_DEP_2) | instskip(NEXT) | instid1(VALU_DEP_1)
	v_add_co_u32 v17, s0, v9, v24
	v_add_co_ci_u32_e64 v18, s0, v18, v25, s0
	v_and_b32_e32 v9, 0xffff0000, v19
	global_load_b32 v20, v[17:18], off offset:64
	s_branch .LBB12_507
.LBB12_506:                             ;   in Loop: Header=BB12_507 Depth=1
	s_or_b32 exec_lo, exec_lo, s6
	v_lshrrev_b32_e32 v19, 16, v19
	s_delay_alu instid0(VALU_DEP_1) | instskip(SKIP_4) | instid1(VALU_DEP_2)
	v_and_or_b32 v19, 0xffff0000, v25, v19
	global_atomic_cmpswap_b32 v19, v[17:18], v[19:20], off offset:64 glc
	s_waitcnt vmcnt(0)
	v_cmp_eq_u32_e64 s0, v19, v20
	v_mov_b32_e32 v20, v19
	s_or_b32 s1, s0, s1
	s_delay_alu instid0(SALU_CYCLE_1)
	s_and_not1_b32 exec_lo, exec_lo, s1
	s_cbranch_execz .LBB12_515
.LBB12_507:                             ; =>This Inner Loop Header: Depth=1
	s_waitcnt vmcnt(0)
	v_lshlrev_b32_e32 v19, 16, v20
	s_delay_alu instid0(VALU_DEP_1) | instskip(NEXT) | instid1(VALU_DEP_1)
	v_add_f32_e32 v24, v9, v19
	v_and_b32_e32 v19, 0x7f800000, v24
	s_delay_alu instid0(VALU_DEP_1) | instskip(NEXT) | instid1(VALU_DEP_1)
	v_cmp_ne_u32_e64 s0, 0x7f800000, v19
                                        ; implicit-def: $vgpr19
	s_and_saveexec_b32 s6, s0
	s_delay_alu instid0(SALU_CYCLE_1)
	s_xor_b32 s0, exec_lo, s6
; %bb.508:                              ;   in Loop: Header=BB12_507 Depth=1
	v_bfe_u32 v19, v24, 16, 1
	s_delay_alu instid0(VALU_DEP_1)
	v_add3_u32 v19, v24, v19, 0x7fff
                                        ; implicit-def: $vgpr24
; %bb.509:                              ;   in Loop: Header=BB12_507 Depth=1
	s_and_not1_saveexec_b32 s6, s0
; %bb.510:                              ;   in Loop: Header=BB12_507 Depth=1
	v_and_b32_e32 v19, 0xffff, v24
	v_or_b32_e32 v25, 0x10000, v24
	s_delay_alu instid0(VALU_DEP_2) | instskip(NEXT) | instid1(VALU_DEP_1)
	v_cmp_eq_u32_e64 s0, 0, v19
	v_cndmask_b32_e64 v19, v25, v24, s0
; %bb.511:                              ;   in Loop: Header=BB12_507 Depth=1
	s_or_b32 exec_lo, exec_lo, s6
	v_and_b32_e32 v24, 0xffff0000, v20
	s_delay_alu instid0(VALU_DEP_1) | instskip(NEXT) | instid1(VALU_DEP_1)
	v_add_f32_e32 v24, v23, v24
	v_and_b32_e32 v25, 0x7f800000, v24
	s_delay_alu instid0(VALU_DEP_1) | instskip(NEXT) | instid1(VALU_DEP_1)
	v_cmp_ne_u32_e64 s0, 0x7f800000, v25
                                        ; implicit-def: $vgpr25
	s_and_saveexec_b32 s6, s0
	s_delay_alu instid0(SALU_CYCLE_1)
	s_xor_b32 s0, exec_lo, s6
; %bb.512:                              ;   in Loop: Header=BB12_507 Depth=1
	v_bfe_u32 v25, v24, 16, 1
	s_delay_alu instid0(VALU_DEP_1)
	v_add3_u32 v25, v24, v25, 0x7fff
                                        ; implicit-def: $vgpr24
; %bb.513:                              ;   in Loop: Header=BB12_507 Depth=1
	s_and_not1_saveexec_b32 s6, s0
	s_cbranch_execz .LBB12_506
; %bb.514:                              ;   in Loop: Header=BB12_507 Depth=1
	v_and_b32_e32 v25, 0xffff, v24
	v_or_b32_e32 v26, 0x10000, v24
	s_delay_alu instid0(VALU_DEP_2) | instskip(NEXT) | instid1(VALU_DEP_1)
	v_cmp_eq_u32_e64 s0, 0, v25
	v_cndmask_b32_e64 v25, v26, v24, s0
	s_branch .LBB12_506
.LBB12_515:
	s_or_b32 exec_lo, exec_lo, s5
	ds_bpermute_b32 v18, v22, v10
	s_and_saveexec_b32 s5, vcc_lo
	s_cbranch_execz .LBB12_535
; %bb.516:
	v_or3_b32 v9, v46, v47, 2
	v_cmp_gt_i32_e64 s1, s17, v21
	s_delay_alu instid0(VALU_DEP_2) | instskip(NEXT) | instid1(VALU_DEP_1)
	v_cmp_gt_i32_e64 s0, s16, v9
	s_and_b32 s0, s0, s1
	s_delay_alu instid0(SALU_CYCLE_1)
	s_and_b32 exec_lo, exec_lo, s0
	s_cbranch_execz .LBB12_535
; %bb.517:
	s_waitcnt lgkmcnt(1)
	v_and_b32_e32 v17, 0x7f800000, v10
	s_delay_alu instid0(VALU_DEP_1) | instskip(NEXT) | instid1(VALU_DEP_1)
	v_cmp_ne_u32_e64 s0, 0x7f800000, v17
                                        ; implicit-def: $vgpr17
	s_and_saveexec_b32 s1, s0
	s_delay_alu instid0(SALU_CYCLE_1)
	s_xor_b32 s0, exec_lo, s1
; %bb.518:
	v_bfe_u32 v17, v10, 16, 1
	s_delay_alu instid0(VALU_DEP_1)
	v_add3_u32 v17, v10, v17, 0x7fff
; %bb.519:
	s_and_not1_saveexec_b32 s1, s0
; %bb.520:
	v_and_b32_e32 v17, 0xffff, v10
	v_or_b32_e32 v19, 0x10000, v10
	s_delay_alu instid0(VALU_DEP_2) | instskip(NEXT) | instid1(VALU_DEP_1)
	v_cmp_eq_u32_e64 s0, 0, v17
	v_cndmask_b32_e64 v17, v19, v10, s0
; %bb.521:
	s_or_b32 exec_lo, exec_lo, s1
	s_waitcnt lgkmcnt(0)
	v_and_b32_e32 v10, 0x7f800000, v18
                                        ; implicit-def: $vgpr20
	s_delay_alu instid0(VALU_DEP_1) | instskip(NEXT) | instid1(VALU_DEP_1)
	v_cmp_ne_u32_e64 s0, 0x7f800000, v10
	s_and_saveexec_b32 s1, s0
	s_delay_alu instid0(SALU_CYCLE_1)
	s_xor_b32 s0, exec_lo, s1
; %bb.522:
	v_bfe_u32 v10, v18, 16, 1
	s_delay_alu instid0(VALU_DEP_1)
	v_add3_u32 v20, v18, v10, 0x7fff
                                        ; implicit-def: $vgpr18
; %bb.523:
	s_and_not1_saveexec_b32 s1, s0
; %bb.524:
	v_and_b32_e32 v10, 0xffff, v18
	v_or_b32_e32 v19, 0x10000, v18
	s_delay_alu instid0(VALU_DEP_2) | instskip(NEXT) | instid1(VALU_DEP_1)
	v_cmp_eq_u32_e64 s0, 0, v10
	v_cndmask_b32_e64 v20, v19, v18, s0
; %bb.525:
	s_or_b32 exec_lo, exec_lo, s1
	v_mul_lo_u32 v9, v9, s17
	s_ashr_i32 s0, s14, 31
	v_add_co_u32 v18, s1, s14, v45
	s_delay_alu instid0(VALU_DEP_1) | instskip(SKIP_2) | instid1(VALU_DEP_4)
	v_add_co_ci_u32_e64 v19, null, s0, 0, s1
	v_and_b32_e32 v20, 0xffff0000, v20
	s_mov_b32 s1, 0
	v_ashrrev_i32_e32 v10, 31, v9
	s_delay_alu instid0(VALU_DEP_3) | instskip(NEXT) | instid1(VALU_DEP_2)
	v_lshlrev_b64 v[18:19], 1, v[18:19]
	v_lshlrev_b64 v[9:10], 1, v[9:10]
	s_delay_alu instid0(VALU_DEP_1) | instskip(NEXT) | instid1(VALU_DEP_1)
	v_add_co_u32 v9, s0, s2, v9
	v_add_co_ci_u32_e64 v10, s0, s3, v10, s0
	s_delay_alu instid0(VALU_DEP_2) | instskip(NEXT) | instid1(VALU_DEP_1)
	v_add_co_u32 v9, s0, v9, v18
	v_add_co_ci_u32_e64 v10, s0, v10, v19, s0
	v_and_b32_e32 v19, 0xffff0000, v17
	global_load_b32 v18, v[9:10], off offset:64
	s_branch .LBB12_527
.LBB12_526:                             ;   in Loop: Header=BB12_527 Depth=1
	s_or_b32 exec_lo, exec_lo, s6
	v_lshrrev_b32_e32 v17, 16, v17
	s_delay_alu instid0(VALU_DEP_1) | instskip(SKIP_4) | instid1(VALU_DEP_2)
	v_and_or_b32 v17, 0xffff0000, v24, v17
	global_atomic_cmpswap_b32 v17, v[9:10], v[17:18], off offset:64 glc
	s_waitcnt vmcnt(0)
	v_cmp_eq_u32_e64 s0, v17, v18
	v_mov_b32_e32 v18, v17
	s_or_b32 s1, s0, s1
	s_delay_alu instid0(SALU_CYCLE_1)
	s_and_not1_b32 exec_lo, exec_lo, s1
	s_cbranch_execz .LBB12_535
.LBB12_527:                             ; =>This Inner Loop Header: Depth=1
	s_waitcnt vmcnt(0)
	v_lshlrev_b32_e32 v17, 16, v18
	s_delay_alu instid0(VALU_DEP_1) | instskip(NEXT) | instid1(VALU_DEP_1)
	v_add_f32_e32 v23, v19, v17
	v_and_b32_e32 v17, 0x7f800000, v23
	s_delay_alu instid0(VALU_DEP_1) | instskip(NEXT) | instid1(VALU_DEP_1)
	v_cmp_ne_u32_e64 s0, 0x7f800000, v17
                                        ; implicit-def: $vgpr17
	s_and_saveexec_b32 s6, s0
	s_delay_alu instid0(SALU_CYCLE_1)
	s_xor_b32 s0, exec_lo, s6
; %bb.528:                              ;   in Loop: Header=BB12_527 Depth=1
	v_bfe_u32 v17, v23, 16, 1
	s_delay_alu instid0(VALU_DEP_1)
	v_add3_u32 v17, v23, v17, 0x7fff
                                        ; implicit-def: $vgpr23
; %bb.529:                              ;   in Loop: Header=BB12_527 Depth=1
	s_and_not1_saveexec_b32 s6, s0
; %bb.530:                              ;   in Loop: Header=BB12_527 Depth=1
	v_and_b32_e32 v17, 0xffff, v23
	v_or_b32_e32 v24, 0x10000, v23
	s_delay_alu instid0(VALU_DEP_2) | instskip(NEXT) | instid1(VALU_DEP_1)
	v_cmp_eq_u32_e64 s0, 0, v17
	v_cndmask_b32_e64 v17, v24, v23, s0
; %bb.531:                              ;   in Loop: Header=BB12_527 Depth=1
	s_or_b32 exec_lo, exec_lo, s6
	v_and_b32_e32 v23, 0xffff0000, v18
	s_delay_alu instid0(VALU_DEP_1) | instskip(NEXT) | instid1(VALU_DEP_1)
	v_add_f32_e32 v23, v20, v23
	v_and_b32_e32 v24, 0x7f800000, v23
	s_delay_alu instid0(VALU_DEP_1) | instskip(NEXT) | instid1(VALU_DEP_1)
	v_cmp_ne_u32_e64 s0, 0x7f800000, v24
                                        ; implicit-def: $vgpr24
	s_and_saveexec_b32 s6, s0
	s_delay_alu instid0(SALU_CYCLE_1)
	s_xor_b32 s0, exec_lo, s6
; %bb.532:                              ;   in Loop: Header=BB12_527 Depth=1
	v_bfe_u32 v24, v23, 16, 1
	s_delay_alu instid0(VALU_DEP_1)
	v_add3_u32 v24, v23, v24, 0x7fff
                                        ; implicit-def: $vgpr23
; %bb.533:                              ;   in Loop: Header=BB12_527 Depth=1
	s_and_not1_saveexec_b32 s6, s0
	s_cbranch_execz .LBB12_526
; %bb.534:                              ;   in Loop: Header=BB12_527 Depth=1
	v_and_b32_e32 v24, 0xffff, v23
	v_or_b32_e32 v25, 0x10000, v23
	s_delay_alu instid0(VALU_DEP_2) | instskip(NEXT) | instid1(VALU_DEP_1)
	v_cmp_eq_u32_e64 s0, 0, v24
	v_cndmask_b32_e64 v24, v25, v23, s0
	s_branch .LBB12_526
.LBB12_535:
	s_or_b32 exec_lo, exec_lo, s5
	ds_bpermute_b32 v10, v22, v11
	s_and_saveexec_b32 s5, vcc_lo
	s_cbranch_execz .LBB12_555
; %bb.536:
	v_or3_b32 v9, v46, v47, 4
	v_cmp_gt_i32_e64 s1, s17, v21
	s_delay_alu instid0(VALU_DEP_2) | instskip(NEXT) | instid1(VALU_DEP_1)
	v_cmp_gt_i32_e64 s0, s16, v9
	s_and_b32 s0, s0, s1
	s_delay_alu instid0(SALU_CYCLE_1)
	s_and_b32 exec_lo, exec_lo, s0
	s_cbranch_execz .LBB12_555
; %bb.537:
	s_waitcnt lgkmcnt(2)
	v_and_b32_e32 v17, 0x7f800000, v11
	s_delay_alu instid0(VALU_DEP_1) | instskip(NEXT) | instid1(VALU_DEP_1)
	v_cmp_ne_u32_e64 s0, 0x7f800000, v17
                                        ; implicit-def: $vgpr17
	s_and_saveexec_b32 s1, s0
	s_delay_alu instid0(SALU_CYCLE_1)
	s_xor_b32 s0, exec_lo, s1
; %bb.538:
	v_bfe_u32 v17, v11, 16, 1
	s_delay_alu instid0(VALU_DEP_1)
	v_add3_u32 v17, v11, v17, 0x7fff
; %bb.539:
	s_and_not1_saveexec_b32 s1, s0
	s_cbranch_execz .LBB12_541
; %bb.540:
	v_and_b32_e32 v17, 0xffff, v11
	s_waitcnt lgkmcnt(1)
	v_or_b32_e32 v18, 0x10000, v11
	s_delay_alu instid0(VALU_DEP_2) | instskip(NEXT) | instid1(VALU_DEP_1)
	v_cmp_eq_u32_e64 s0, 0, v17
	v_cndmask_b32_e64 v17, v18, v11, s0
.LBB12_541:
	s_or_b32 exec_lo, exec_lo, s1
	s_waitcnt lgkmcnt(0)
	v_and_b32_e32 v11, 0x7f800000, v10
                                        ; implicit-def: $vgpr19
	s_delay_alu instid0(VALU_DEP_1) | instskip(NEXT) | instid1(VALU_DEP_1)
	v_cmp_ne_u32_e64 s0, 0x7f800000, v11
	s_and_saveexec_b32 s1, s0
	s_delay_alu instid0(SALU_CYCLE_1)
	s_xor_b32 s0, exec_lo, s1
; %bb.542:
	v_bfe_u32 v11, v10, 16, 1
	s_delay_alu instid0(VALU_DEP_1)
	v_add3_u32 v19, v10, v11, 0x7fff
                                        ; implicit-def: $vgpr10
; %bb.543:
	s_and_not1_saveexec_b32 s1, s0
; %bb.544:
	v_and_b32_e32 v11, 0xffff, v10
	v_or_b32_e32 v18, 0x10000, v10
	s_delay_alu instid0(VALU_DEP_2) | instskip(NEXT) | instid1(VALU_DEP_1)
	v_cmp_eq_u32_e64 s0, 0, v11
	v_cndmask_b32_e64 v19, v18, v10, s0
; %bb.545:
	s_or_b32 exec_lo, exec_lo, s1
	v_mul_lo_u32 v9, v9, s17
	s_ashr_i32 s0, s14, 31
	v_add_co_u32 v23, s1, s14, v45
	s_delay_alu instid0(VALU_DEP_1) | instskip(SKIP_3) | instid1(VALU_DEP_4)
	v_add_co_ci_u32_e64 v24, null, s0, 0, s1
	v_and_b32_e32 v11, 0xffff0000, v17
	v_and_b32_e32 v19, 0xffff0000, v19
	v_ashrrev_i32_e32 v10, 31, v9
	v_lshlrev_b64 v[23:24], 1, v[23:24]
	s_mov_b32 s1, 0
	s_delay_alu instid0(VALU_DEP_2) | instskip(NEXT) | instid1(VALU_DEP_1)
	v_lshlrev_b64 v[9:10], 1, v[9:10]
	v_add_co_u32 v9, s0, s2, v9
	s_delay_alu instid0(VALU_DEP_1) | instskip(NEXT) | instid1(VALU_DEP_2)
	v_add_co_ci_u32_e64 v10, s0, s3, v10, s0
	v_add_co_u32 v9, s0, v9, v23
	s_delay_alu instid0(VALU_DEP_1)
	v_add_co_ci_u32_e64 v10, s0, v10, v24, s0
	global_load_b32 v18, v[9:10], off offset:64
	s_branch .LBB12_547
.LBB12_546:                             ;   in Loop: Header=BB12_547 Depth=1
	s_or_b32 exec_lo, exec_lo, s6
	v_lshrrev_b32_e32 v17, 16, v17
	s_delay_alu instid0(VALU_DEP_1) | instskip(SKIP_4) | instid1(VALU_DEP_2)
	v_and_or_b32 v17, 0xffff0000, v23, v17
	global_atomic_cmpswap_b32 v17, v[9:10], v[17:18], off offset:64 glc
	s_waitcnt vmcnt(0)
	v_cmp_eq_u32_e64 s0, v17, v18
	v_mov_b32_e32 v18, v17
	s_or_b32 s1, s0, s1
	s_delay_alu instid0(SALU_CYCLE_1)
	s_and_not1_b32 exec_lo, exec_lo, s1
	s_cbranch_execz .LBB12_555
.LBB12_547:                             ; =>This Inner Loop Header: Depth=1
	s_waitcnt vmcnt(0)
	v_lshlrev_b32_e32 v17, 16, v18
	s_delay_alu instid0(VALU_DEP_1) | instskip(NEXT) | instid1(VALU_DEP_1)
	v_add_f32_e32 v20, v11, v17
	v_and_b32_e32 v17, 0x7f800000, v20
	s_delay_alu instid0(VALU_DEP_1) | instskip(NEXT) | instid1(VALU_DEP_1)
	v_cmp_ne_u32_e64 s0, 0x7f800000, v17
                                        ; implicit-def: $vgpr17
	s_and_saveexec_b32 s6, s0
	s_delay_alu instid0(SALU_CYCLE_1)
	s_xor_b32 s0, exec_lo, s6
; %bb.548:                              ;   in Loop: Header=BB12_547 Depth=1
	v_bfe_u32 v17, v20, 16, 1
	s_delay_alu instid0(VALU_DEP_1)
	v_add3_u32 v17, v20, v17, 0x7fff
                                        ; implicit-def: $vgpr20
; %bb.549:                              ;   in Loop: Header=BB12_547 Depth=1
	s_and_not1_saveexec_b32 s6, s0
; %bb.550:                              ;   in Loop: Header=BB12_547 Depth=1
	v_and_b32_e32 v17, 0xffff, v20
	v_or_b32_e32 v23, 0x10000, v20
	s_delay_alu instid0(VALU_DEP_2) | instskip(NEXT) | instid1(VALU_DEP_1)
	v_cmp_eq_u32_e64 s0, 0, v17
	v_cndmask_b32_e64 v17, v23, v20, s0
; %bb.551:                              ;   in Loop: Header=BB12_547 Depth=1
	s_or_b32 exec_lo, exec_lo, s6
	v_and_b32_e32 v20, 0xffff0000, v18
	s_delay_alu instid0(VALU_DEP_1) | instskip(NEXT) | instid1(VALU_DEP_1)
	v_add_f32_e32 v20, v19, v20
	v_and_b32_e32 v23, 0x7f800000, v20
	s_delay_alu instid0(VALU_DEP_1) | instskip(NEXT) | instid1(VALU_DEP_1)
	v_cmp_ne_u32_e64 s0, 0x7f800000, v23
                                        ; implicit-def: $vgpr23
	s_and_saveexec_b32 s6, s0
	s_delay_alu instid0(SALU_CYCLE_1)
	s_xor_b32 s0, exec_lo, s6
; %bb.552:                              ;   in Loop: Header=BB12_547 Depth=1
	v_bfe_u32 v23, v20, 16, 1
	s_delay_alu instid0(VALU_DEP_1)
	v_add3_u32 v23, v20, v23, 0x7fff
                                        ; implicit-def: $vgpr20
; %bb.553:                              ;   in Loop: Header=BB12_547 Depth=1
	s_and_not1_saveexec_b32 s6, s0
	s_cbranch_execz .LBB12_546
; %bb.554:                              ;   in Loop: Header=BB12_547 Depth=1
	v_and_b32_e32 v23, 0xffff, v20
	v_or_b32_e32 v24, 0x10000, v20
	s_delay_alu instid0(VALU_DEP_2) | instskip(NEXT) | instid1(VALU_DEP_1)
	v_cmp_eq_u32_e64 s0, 0, v23
	v_cndmask_b32_e64 v23, v24, v20, s0
	s_branch .LBB12_546
.LBB12_555:
	s_or_b32 exec_lo, exec_lo, s5
	s_waitcnt lgkmcnt(0)
	ds_bpermute_b32 v10, v22, v12
	s_and_saveexec_b32 s5, vcc_lo
	s_cbranch_execz .LBB12_575
; %bb.556:
	v_or3_b32 v9, v46, v47, 6
	v_cmp_gt_i32_e64 s1, s17, v21
	s_delay_alu instid0(VALU_DEP_2) | instskip(NEXT) | instid1(VALU_DEP_1)
	v_cmp_gt_i32_e64 s0, s16, v9
	s_and_b32 s0, s0, s1
	s_delay_alu instid0(SALU_CYCLE_1)
	s_and_b32 exec_lo, exec_lo, s0
	s_cbranch_execz .LBB12_575
; %bb.557:
	v_and_b32_e32 v11, 0x7f800000, v12
	s_delay_alu instid0(VALU_DEP_1) | instskip(NEXT) | instid1(VALU_DEP_1)
	v_cmp_ne_u32_e64 s0, 0x7f800000, v11
                                        ; implicit-def: $vgpr11
	s_and_saveexec_b32 s1, s0
	s_delay_alu instid0(SALU_CYCLE_1)
	s_xor_b32 s0, exec_lo, s1
; %bb.558:
	v_bfe_u32 v11, v12, 16, 1
	s_delay_alu instid0(VALU_DEP_1)
	v_add3_u32 v11, v12, v11, 0x7fff
; %bb.559:
	s_and_not1_saveexec_b32 s1, s0
; %bb.560:
	v_and_b32_e32 v11, 0xffff, v12
	v_or_b32_e32 v17, 0x10000, v12
	s_delay_alu instid0(VALU_DEP_2) | instskip(NEXT) | instid1(VALU_DEP_1)
	v_cmp_eq_u32_e64 s0, 0, v11
	v_cndmask_b32_e64 v11, v17, v12, s0
; %bb.561:
	s_or_b32 exec_lo, exec_lo, s1
	s_waitcnt lgkmcnt(0)
	v_and_b32_e32 v12, 0x7f800000, v10
                                        ; implicit-def: $vgpr18
	s_delay_alu instid0(VALU_DEP_1) | instskip(NEXT) | instid1(VALU_DEP_1)
	v_cmp_ne_u32_e64 s0, 0x7f800000, v12
	s_and_saveexec_b32 s1, s0
	s_delay_alu instid0(SALU_CYCLE_1)
	s_xor_b32 s0, exec_lo, s1
; %bb.562:
	v_bfe_u32 v12, v10, 16, 1
	s_delay_alu instid0(VALU_DEP_1)
	v_add3_u32 v18, v10, v12, 0x7fff
                                        ; implicit-def: $vgpr10
; %bb.563:
	s_and_not1_saveexec_b32 s1, s0
; %bb.564:
	v_and_b32_e32 v12, 0xffff, v10
	v_or_b32_e32 v17, 0x10000, v10
	s_delay_alu instid0(VALU_DEP_2) | instskip(NEXT) | instid1(VALU_DEP_1)
	v_cmp_eq_u32_e64 s0, 0, v12
	v_cndmask_b32_e64 v18, v17, v10, s0
; %bb.565:
	s_or_b32 exec_lo, exec_lo, s1
	v_mul_lo_u32 v9, v9, s17
	s_ashr_i32 s0, s14, 31
	v_add_co_u32 v19, s1, s14, v45
	s_delay_alu instid0(VALU_DEP_1) | instskip(SKIP_3) | instid1(VALU_DEP_4)
	v_add_co_ci_u32_e64 v20, null, s0, 0, s1
	v_and_b32_e32 v17, 0xffff0000, v11
	v_and_b32_e32 v18, 0xffff0000, v18
	v_ashrrev_i32_e32 v10, 31, v9
	v_lshlrev_b64 v[19:20], 1, v[19:20]
	s_mov_b32 s1, 0
	s_delay_alu instid0(VALU_DEP_2) | instskip(NEXT) | instid1(VALU_DEP_1)
	v_lshlrev_b64 v[9:10], 1, v[9:10]
	v_add_co_u32 v9, s0, s2, v9
	s_delay_alu instid0(VALU_DEP_1) | instskip(NEXT) | instid1(VALU_DEP_2)
	v_add_co_ci_u32_e64 v10, s0, s3, v10, s0
	v_add_co_u32 v9, s0, v9, v19
	s_delay_alu instid0(VALU_DEP_1)
	v_add_co_ci_u32_e64 v10, s0, v10, v20, s0
	global_load_b32 v12, v[9:10], off offset:64
	s_branch .LBB12_567
.LBB12_566:                             ;   in Loop: Header=BB12_567 Depth=1
	s_or_b32 exec_lo, exec_lo, s6
	v_lshrrev_b32_e32 v11, 16, v11
	s_delay_alu instid0(VALU_DEP_1) | instskip(SKIP_4) | instid1(VALU_DEP_2)
	v_and_or_b32 v11, 0xffff0000, v20, v11
	global_atomic_cmpswap_b32 v11, v[9:10], v[11:12], off offset:64 glc
	s_waitcnt vmcnt(0)
	v_cmp_eq_u32_e64 s0, v11, v12
	v_mov_b32_e32 v12, v11
	s_or_b32 s1, s0, s1
	s_delay_alu instid0(SALU_CYCLE_1)
	s_and_not1_b32 exec_lo, exec_lo, s1
	s_cbranch_execz .LBB12_575
.LBB12_567:                             ; =>This Inner Loop Header: Depth=1
	s_waitcnt vmcnt(0)
	v_lshlrev_b32_e32 v11, 16, v12
	s_delay_alu instid0(VALU_DEP_1) | instskip(NEXT) | instid1(VALU_DEP_1)
	v_add_f32_e32 v19, v17, v11
	v_and_b32_e32 v11, 0x7f800000, v19
	s_delay_alu instid0(VALU_DEP_1) | instskip(NEXT) | instid1(VALU_DEP_1)
	v_cmp_ne_u32_e64 s0, 0x7f800000, v11
                                        ; implicit-def: $vgpr11
	s_and_saveexec_b32 s6, s0
	s_delay_alu instid0(SALU_CYCLE_1)
	s_xor_b32 s0, exec_lo, s6
; %bb.568:                              ;   in Loop: Header=BB12_567 Depth=1
	v_bfe_u32 v11, v19, 16, 1
	s_delay_alu instid0(VALU_DEP_1)
	v_add3_u32 v11, v19, v11, 0x7fff
                                        ; implicit-def: $vgpr19
; %bb.569:                              ;   in Loop: Header=BB12_567 Depth=1
	s_and_not1_saveexec_b32 s6, s0
; %bb.570:                              ;   in Loop: Header=BB12_567 Depth=1
	v_and_b32_e32 v11, 0xffff, v19
	v_or_b32_e32 v20, 0x10000, v19
	s_delay_alu instid0(VALU_DEP_2) | instskip(NEXT) | instid1(VALU_DEP_1)
	v_cmp_eq_u32_e64 s0, 0, v11
	v_cndmask_b32_e64 v11, v20, v19, s0
; %bb.571:                              ;   in Loop: Header=BB12_567 Depth=1
	s_or_b32 exec_lo, exec_lo, s6
	v_and_b32_e32 v19, 0xffff0000, v12
	s_delay_alu instid0(VALU_DEP_1) | instskip(NEXT) | instid1(VALU_DEP_1)
	v_add_f32_e32 v19, v18, v19
	v_and_b32_e32 v20, 0x7f800000, v19
	s_delay_alu instid0(VALU_DEP_1) | instskip(NEXT) | instid1(VALU_DEP_1)
	v_cmp_ne_u32_e64 s0, 0x7f800000, v20
                                        ; implicit-def: $vgpr20
	s_and_saveexec_b32 s6, s0
	s_delay_alu instid0(SALU_CYCLE_1)
	s_xor_b32 s0, exec_lo, s6
; %bb.572:                              ;   in Loop: Header=BB12_567 Depth=1
	v_bfe_u32 v20, v19, 16, 1
	s_delay_alu instid0(VALU_DEP_1)
	v_add3_u32 v20, v19, v20, 0x7fff
                                        ; implicit-def: $vgpr19
; %bb.573:                              ;   in Loop: Header=BB12_567 Depth=1
	s_and_not1_saveexec_b32 s6, s0
	s_cbranch_execz .LBB12_566
; %bb.574:                              ;   in Loop: Header=BB12_567 Depth=1
	v_and_b32_e32 v20, 0xffff, v19
	v_or_b32_e32 v23, 0x10000, v19
	s_delay_alu instid0(VALU_DEP_2) | instskip(NEXT) | instid1(VALU_DEP_1)
	v_cmp_eq_u32_e64 s0, 0, v20
	v_cndmask_b32_e64 v20, v23, v19, s0
	s_branch .LBB12_566
.LBB12_575:
	s_or_b32 exec_lo, exec_lo, s5
	s_waitcnt lgkmcnt(0)
	ds_bpermute_b32 v10, v22, v13
	s_and_saveexec_b32 s5, vcc_lo
	s_cbranch_execz .LBB12_595
; %bb.576:
	v_or3_b32 v9, v46, v47, 8
	v_cmp_gt_i32_e64 s1, s17, v21
	s_delay_alu instid0(VALU_DEP_2) | instskip(NEXT) | instid1(VALU_DEP_1)
	v_cmp_gt_i32_e64 s0, s16, v9
	s_and_b32 s0, s0, s1
	s_delay_alu instid0(SALU_CYCLE_1)
	s_and_b32 exec_lo, exec_lo, s0
	s_cbranch_execz .LBB12_595
; %bb.577:
	v_and_b32_e32 v11, 0x7f800000, v13
	s_delay_alu instid0(VALU_DEP_1) | instskip(NEXT) | instid1(VALU_DEP_1)
	v_cmp_ne_u32_e64 s0, 0x7f800000, v11
                                        ; implicit-def: $vgpr11
	s_and_saveexec_b32 s1, s0
	s_delay_alu instid0(SALU_CYCLE_1)
	s_xor_b32 s0, exec_lo, s1
; %bb.578:
	v_bfe_u32 v11, v13, 16, 1
	s_delay_alu instid0(VALU_DEP_1)
	v_add3_u32 v11, v13, v11, 0x7fff
; %bb.579:
	s_and_not1_saveexec_b32 s1, s0
; %bb.580:
	v_and_b32_e32 v11, 0xffff, v13
	v_or_b32_e32 v12, 0x10000, v13
	s_delay_alu instid0(VALU_DEP_2) | instskip(NEXT) | instid1(VALU_DEP_1)
	v_cmp_eq_u32_e64 s0, 0, v11
	v_cndmask_b32_e64 v11, v12, v13, s0
; %bb.581:
	s_or_b32 exec_lo, exec_lo, s1
	s_waitcnt lgkmcnt(0)
	v_and_b32_e32 v12, 0x7f800000, v10
                                        ; implicit-def: $vgpr17
	s_delay_alu instid0(VALU_DEP_1) | instskip(NEXT) | instid1(VALU_DEP_1)
	v_cmp_ne_u32_e64 s0, 0x7f800000, v12
	s_and_saveexec_b32 s1, s0
	s_delay_alu instid0(SALU_CYCLE_1)
	s_xor_b32 s0, exec_lo, s1
; %bb.582:
	v_bfe_u32 v12, v10, 16, 1
	s_delay_alu instid0(VALU_DEP_1)
	v_add3_u32 v17, v10, v12, 0x7fff
                                        ; implicit-def: $vgpr10
; %bb.583:
	s_and_not1_saveexec_b32 s1, s0
; %bb.584:
	v_and_b32_e32 v12, 0xffff, v10
	v_or_b32_e32 v13, 0x10000, v10
	s_delay_alu instid0(VALU_DEP_2) | instskip(NEXT) | instid1(VALU_DEP_1)
	v_cmp_eq_u32_e64 s0, 0, v12
	v_cndmask_b32_e64 v17, v13, v10, s0
; %bb.585:
	s_or_b32 exec_lo, exec_lo, s1
	v_mul_lo_u32 v9, v9, s17
	s_ashr_i32 s0, s14, 31
	v_add_co_u32 v12, s1, s14, v45
	s_delay_alu instid0(VALU_DEP_1) | instskip(SKIP_2) | instid1(VALU_DEP_4)
	v_add_co_ci_u32_e64 v13, null, s0, 0, s1
	v_and_b32_e32 v17, 0xffff0000, v17
	s_mov_b32 s1, 0
	v_ashrrev_i32_e32 v10, 31, v9
	s_delay_alu instid0(VALU_DEP_3) | instskip(NEXT) | instid1(VALU_DEP_2)
	v_lshlrev_b64 v[12:13], 1, v[12:13]
	v_lshlrev_b64 v[9:10], 1, v[9:10]
	s_delay_alu instid0(VALU_DEP_1) | instskip(NEXT) | instid1(VALU_DEP_1)
	v_add_co_u32 v9, s0, s2, v9
	v_add_co_ci_u32_e64 v10, s0, s3, v10, s0
	s_delay_alu instid0(VALU_DEP_2) | instskip(NEXT) | instid1(VALU_DEP_1)
	v_add_co_u32 v9, s0, v9, v12
	v_add_co_ci_u32_e64 v10, s0, v10, v13, s0
	v_and_b32_e32 v13, 0xffff0000, v11
	global_load_b32 v12, v[9:10], off offset:64
	s_branch .LBB12_587
.LBB12_586:                             ;   in Loop: Header=BB12_587 Depth=1
	s_or_b32 exec_lo, exec_lo, s6
	v_lshrrev_b32_e32 v11, 16, v11
	s_delay_alu instid0(VALU_DEP_1) | instskip(SKIP_4) | instid1(VALU_DEP_2)
	v_and_or_b32 v11, 0xffff0000, v19, v11
	global_atomic_cmpswap_b32 v11, v[9:10], v[11:12], off offset:64 glc
	s_waitcnt vmcnt(0)
	v_cmp_eq_u32_e64 s0, v11, v12
	v_mov_b32_e32 v12, v11
	s_or_b32 s1, s0, s1
	s_delay_alu instid0(SALU_CYCLE_1)
	s_and_not1_b32 exec_lo, exec_lo, s1
	s_cbranch_execz .LBB12_595
.LBB12_587:                             ; =>This Inner Loop Header: Depth=1
	s_waitcnt vmcnt(0)
	v_lshlrev_b32_e32 v11, 16, v12
	s_delay_alu instid0(VALU_DEP_1) | instskip(NEXT) | instid1(VALU_DEP_1)
	v_add_f32_e32 v18, v13, v11
	v_and_b32_e32 v11, 0x7f800000, v18
	s_delay_alu instid0(VALU_DEP_1) | instskip(NEXT) | instid1(VALU_DEP_1)
	v_cmp_ne_u32_e64 s0, 0x7f800000, v11
                                        ; implicit-def: $vgpr11
	s_and_saveexec_b32 s6, s0
	s_delay_alu instid0(SALU_CYCLE_1)
	s_xor_b32 s0, exec_lo, s6
; %bb.588:                              ;   in Loop: Header=BB12_587 Depth=1
	v_bfe_u32 v11, v18, 16, 1
	s_delay_alu instid0(VALU_DEP_1)
	v_add3_u32 v11, v18, v11, 0x7fff
                                        ; implicit-def: $vgpr18
; %bb.589:                              ;   in Loop: Header=BB12_587 Depth=1
	s_and_not1_saveexec_b32 s6, s0
; %bb.590:                              ;   in Loop: Header=BB12_587 Depth=1
	v_and_b32_e32 v11, 0xffff, v18
	v_or_b32_e32 v19, 0x10000, v18
	s_delay_alu instid0(VALU_DEP_2) | instskip(NEXT) | instid1(VALU_DEP_1)
	v_cmp_eq_u32_e64 s0, 0, v11
	v_cndmask_b32_e64 v11, v19, v18, s0
; %bb.591:                              ;   in Loop: Header=BB12_587 Depth=1
	s_or_b32 exec_lo, exec_lo, s6
	v_and_b32_e32 v18, 0xffff0000, v12
	s_delay_alu instid0(VALU_DEP_1) | instskip(NEXT) | instid1(VALU_DEP_1)
	v_add_f32_e32 v18, v17, v18
	v_and_b32_e32 v19, 0x7f800000, v18
	s_delay_alu instid0(VALU_DEP_1) | instskip(NEXT) | instid1(VALU_DEP_1)
	v_cmp_ne_u32_e64 s0, 0x7f800000, v19
                                        ; implicit-def: $vgpr19
	s_and_saveexec_b32 s6, s0
	s_delay_alu instid0(SALU_CYCLE_1)
	s_xor_b32 s0, exec_lo, s6
; %bb.592:                              ;   in Loop: Header=BB12_587 Depth=1
	v_bfe_u32 v19, v18, 16, 1
	s_delay_alu instid0(VALU_DEP_1)
	v_add3_u32 v19, v18, v19, 0x7fff
                                        ; implicit-def: $vgpr18
; %bb.593:                              ;   in Loop: Header=BB12_587 Depth=1
	s_and_not1_saveexec_b32 s6, s0
	s_cbranch_execz .LBB12_586
; %bb.594:                              ;   in Loop: Header=BB12_587 Depth=1
	v_and_b32_e32 v19, 0xffff, v18
	v_or_b32_e32 v20, 0x10000, v18
	s_delay_alu instid0(VALU_DEP_2) | instskip(NEXT) | instid1(VALU_DEP_1)
	v_cmp_eq_u32_e64 s0, 0, v19
	v_cndmask_b32_e64 v19, v20, v18, s0
	s_branch .LBB12_586
.LBB12_595:
	s_or_b32 exec_lo, exec_lo, s5
	s_waitcnt lgkmcnt(0)
	ds_bpermute_b32 v10, v22, v14
	s_and_saveexec_b32 s5, vcc_lo
	s_cbranch_execz .LBB12_615
; %bb.596:
	v_or3_b32 v9, v46, v47, 10
	v_cmp_gt_i32_e64 s1, s17, v21
	s_delay_alu instid0(VALU_DEP_2) | instskip(NEXT) | instid1(VALU_DEP_1)
	v_cmp_gt_i32_e64 s0, s16, v9
	s_and_b32 s0, s0, s1
	s_delay_alu instid0(SALU_CYCLE_1)
	s_and_b32 exec_lo, exec_lo, s0
	s_cbranch_execz .LBB12_615
; %bb.597:
	v_and_b32_e32 v11, 0x7f800000, v14
	s_delay_alu instid0(VALU_DEP_1) | instskip(NEXT) | instid1(VALU_DEP_1)
	v_cmp_ne_u32_e64 s0, 0x7f800000, v11
                                        ; implicit-def: $vgpr11
	s_and_saveexec_b32 s1, s0
	s_delay_alu instid0(SALU_CYCLE_1)
	s_xor_b32 s0, exec_lo, s1
; %bb.598:
	v_bfe_u32 v11, v14, 16, 1
	s_delay_alu instid0(VALU_DEP_1)
	v_add3_u32 v11, v14, v11, 0x7fff
; %bb.599:
	s_and_not1_saveexec_b32 s1, s0
; %bb.600:
	v_and_b32_e32 v11, 0xffff, v14
	v_or_b32_e32 v12, 0x10000, v14
	s_delay_alu instid0(VALU_DEP_2) | instskip(NEXT) | instid1(VALU_DEP_1)
	v_cmp_eq_u32_e64 s0, 0, v11
	v_cndmask_b32_e64 v11, v12, v14, s0
; %bb.601:
	s_or_b32 exec_lo, exec_lo, s1
	s_waitcnt lgkmcnt(0)
	v_and_b32_e32 v12, 0x7f800000, v10
                                        ; implicit-def: $vgpr14
	s_delay_alu instid0(VALU_DEP_1) | instskip(NEXT) | instid1(VALU_DEP_1)
	v_cmp_ne_u32_e64 s0, 0x7f800000, v12
	s_and_saveexec_b32 s1, s0
	s_delay_alu instid0(SALU_CYCLE_1)
	s_xor_b32 s0, exec_lo, s1
; %bb.602:
	v_bfe_u32 v12, v10, 16, 1
	s_delay_alu instid0(VALU_DEP_1)
	v_add3_u32 v14, v10, v12, 0x7fff
                                        ; implicit-def: $vgpr10
; %bb.603:
	s_and_not1_saveexec_b32 s1, s0
; %bb.604:
	v_and_b32_e32 v12, 0xffff, v10
	v_or_b32_e32 v13, 0x10000, v10
	s_delay_alu instid0(VALU_DEP_2) | instskip(NEXT) | instid1(VALU_DEP_1)
	v_cmp_eq_u32_e64 s0, 0, v12
	v_cndmask_b32_e64 v14, v13, v10, s0
; %bb.605:
	s_or_b32 exec_lo, exec_lo, s1
	v_mul_lo_u32 v9, v9, s17
	s_ashr_i32 s0, s14, 31
	v_add_co_u32 v12, s1, s14, v45
	s_delay_alu instid0(VALU_DEP_1) | instskip(SKIP_2) | instid1(VALU_DEP_4)
	v_add_co_ci_u32_e64 v13, null, s0, 0, s1
	v_and_b32_e32 v14, 0xffff0000, v14
	s_mov_b32 s1, 0
	v_ashrrev_i32_e32 v10, 31, v9
	s_delay_alu instid0(VALU_DEP_3) | instskip(NEXT) | instid1(VALU_DEP_2)
	v_lshlrev_b64 v[12:13], 1, v[12:13]
	v_lshlrev_b64 v[9:10], 1, v[9:10]
	s_delay_alu instid0(VALU_DEP_1) | instskip(NEXT) | instid1(VALU_DEP_1)
	v_add_co_u32 v9, s0, s2, v9
	v_add_co_ci_u32_e64 v10, s0, s3, v10, s0
	s_delay_alu instid0(VALU_DEP_2) | instskip(NEXT) | instid1(VALU_DEP_1)
	v_add_co_u32 v9, s0, v9, v12
	v_add_co_ci_u32_e64 v10, s0, v10, v13, s0
	v_and_b32_e32 v13, 0xffff0000, v11
	global_load_b32 v12, v[9:10], off offset:64
	s_branch .LBB12_607
.LBB12_606:                             ;   in Loop: Header=BB12_607 Depth=1
	s_or_b32 exec_lo, exec_lo, s6
	v_lshrrev_b32_e32 v11, 16, v11
	s_delay_alu instid0(VALU_DEP_1) | instskip(SKIP_4) | instid1(VALU_DEP_2)
	v_and_or_b32 v11, 0xffff0000, v18, v11
	global_atomic_cmpswap_b32 v11, v[9:10], v[11:12], off offset:64 glc
	s_waitcnt vmcnt(0)
	v_cmp_eq_u32_e64 s0, v11, v12
	v_mov_b32_e32 v12, v11
	s_or_b32 s1, s0, s1
	s_delay_alu instid0(SALU_CYCLE_1)
	s_and_not1_b32 exec_lo, exec_lo, s1
	s_cbranch_execz .LBB12_615
.LBB12_607:                             ; =>This Inner Loop Header: Depth=1
	s_waitcnt vmcnt(0)
	v_lshlrev_b32_e32 v11, 16, v12
	s_delay_alu instid0(VALU_DEP_1) | instskip(NEXT) | instid1(VALU_DEP_1)
	v_add_f32_e32 v17, v13, v11
	v_and_b32_e32 v11, 0x7f800000, v17
	s_delay_alu instid0(VALU_DEP_1) | instskip(NEXT) | instid1(VALU_DEP_1)
	v_cmp_ne_u32_e64 s0, 0x7f800000, v11
                                        ; implicit-def: $vgpr11
	s_and_saveexec_b32 s6, s0
	s_delay_alu instid0(SALU_CYCLE_1)
	s_xor_b32 s0, exec_lo, s6
; %bb.608:                              ;   in Loop: Header=BB12_607 Depth=1
	v_bfe_u32 v11, v17, 16, 1
	s_delay_alu instid0(VALU_DEP_1)
	v_add3_u32 v11, v17, v11, 0x7fff
                                        ; implicit-def: $vgpr17
; %bb.609:                              ;   in Loop: Header=BB12_607 Depth=1
	s_and_not1_saveexec_b32 s6, s0
; %bb.610:                              ;   in Loop: Header=BB12_607 Depth=1
	v_and_b32_e32 v11, 0xffff, v17
	v_or_b32_e32 v18, 0x10000, v17
	s_delay_alu instid0(VALU_DEP_2) | instskip(NEXT) | instid1(VALU_DEP_1)
	v_cmp_eq_u32_e64 s0, 0, v11
	v_cndmask_b32_e64 v11, v18, v17, s0
; %bb.611:                              ;   in Loop: Header=BB12_607 Depth=1
	s_or_b32 exec_lo, exec_lo, s6
	v_and_b32_e32 v17, 0xffff0000, v12
	s_delay_alu instid0(VALU_DEP_1) | instskip(NEXT) | instid1(VALU_DEP_1)
	v_add_f32_e32 v17, v14, v17
	v_and_b32_e32 v18, 0x7f800000, v17
	s_delay_alu instid0(VALU_DEP_1) | instskip(NEXT) | instid1(VALU_DEP_1)
	v_cmp_ne_u32_e64 s0, 0x7f800000, v18
                                        ; implicit-def: $vgpr18
	s_and_saveexec_b32 s6, s0
	s_delay_alu instid0(SALU_CYCLE_1)
	s_xor_b32 s0, exec_lo, s6
; %bb.612:                              ;   in Loop: Header=BB12_607 Depth=1
	v_bfe_u32 v18, v17, 16, 1
	s_delay_alu instid0(VALU_DEP_1)
	v_add3_u32 v18, v17, v18, 0x7fff
                                        ; implicit-def: $vgpr17
; %bb.613:                              ;   in Loop: Header=BB12_607 Depth=1
	s_and_not1_saveexec_b32 s6, s0
	s_cbranch_execz .LBB12_606
; %bb.614:                              ;   in Loop: Header=BB12_607 Depth=1
	v_and_b32_e32 v18, 0xffff, v17
	v_or_b32_e32 v19, 0x10000, v17
	s_delay_alu instid0(VALU_DEP_2) | instskip(NEXT) | instid1(VALU_DEP_1)
	v_cmp_eq_u32_e64 s0, 0, v18
	v_cndmask_b32_e64 v18, v19, v17, s0
	s_branch .LBB12_606
.LBB12_615:
	s_or_b32 exec_lo, exec_lo, s5
	s_waitcnt lgkmcnt(0)
	ds_bpermute_b32 v10, v22, v15
	s_and_saveexec_b32 s5, vcc_lo
	s_cbranch_execz .LBB12_635
; %bb.616:
	v_or3_b32 v9, v46, v47, 12
	v_cmp_gt_i32_e64 s1, s17, v21
	s_delay_alu instid0(VALU_DEP_2) | instskip(NEXT) | instid1(VALU_DEP_1)
	v_cmp_gt_i32_e64 s0, s16, v9
	s_and_b32 s0, s0, s1
	s_delay_alu instid0(SALU_CYCLE_1)
	s_and_b32 exec_lo, exec_lo, s0
	s_cbranch_execz .LBB12_635
; %bb.617:
	v_and_b32_e32 v11, 0x7f800000, v15
	s_delay_alu instid0(VALU_DEP_1) | instskip(NEXT) | instid1(VALU_DEP_1)
	v_cmp_ne_u32_e64 s0, 0x7f800000, v11
                                        ; implicit-def: $vgpr11
	s_and_saveexec_b32 s1, s0
	s_delay_alu instid0(SALU_CYCLE_1)
	s_xor_b32 s0, exec_lo, s1
; %bb.618:
	v_bfe_u32 v11, v15, 16, 1
	s_delay_alu instid0(VALU_DEP_1)
	v_add3_u32 v11, v15, v11, 0x7fff
; %bb.619:
	s_and_not1_saveexec_b32 s1, s0
; %bb.620:
	v_and_b32_e32 v11, 0xffff, v15
	v_or_b32_e32 v12, 0x10000, v15
	s_delay_alu instid0(VALU_DEP_2) | instskip(NEXT) | instid1(VALU_DEP_1)
	v_cmp_eq_u32_e64 s0, 0, v11
	v_cndmask_b32_e64 v11, v12, v15, s0
; %bb.621:
	s_or_b32 exec_lo, exec_lo, s1
	s_waitcnt lgkmcnt(0)
	v_and_b32_e32 v12, 0x7f800000, v10
                                        ; implicit-def: $vgpr14
	s_delay_alu instid0(VALU_DEP_1) | instskip(NEXT) | instid1(VALU_DEP_1)
	v_cmp_ne_u32_e64 s0, 0x7f800000, v12
	s_and_saveexec_b32 s1, s0
	s_delay_alu instid0(SALU_CYCLE_1)
	s_xor_b32 s0, exec_lo, s1
; %bb.622:
	v_bfe_u32 v12, v10, 16, 1
	s_delay_alu instid0(VALU_DEP_1)
	v_add3_u32 v14, v10, v12, 0x7fff
                                        ; implicit-def: $vgpr10
; %bb.623:
	s_and_not1_saveexec_b32 s1, s0
; %bb.624:
	v_and_b32_e32 v12, 0xffff, v10
	v_or_b32_e32 v13, 0x10000, v10
	s_delay_alu instid0(VALU_DEP_2) | instskip(NEXT) | instid1(VALU_DEP_1)
	v_cmp_eq_u32_e64 s0, 0, v12
	v_cndmask_b32_e64 v14, v13, v10, s0
; %bb.625:
	s_or_b32 exec_lo, exec_lo, s1
	v_mul_lo_u32 v9, v9, s17
	s_ashr_i32 s0, s14, 31
	v_add_co_u32 v12, s1, s14, v45
	s_delay_alu instid0(VALU_DEP_1) | instskip(SKIP_2) | instid1(VALU_DEP_4)
	v_add_co_ci_u32_e64 v13, null, s0, 0, s1
	v_and_b32_e32 v14, 0xffff0000, v14
	s_mov_b32 s1, 0
	v_ashrrev_i32_e32 v10, 31, v9
	s_delay_alu instid0(VALU_DEP_3) | instskip(NEXT) | instid1(VALU_DEP_2)
	v_lshlrev_b64 v[12:13], 1, v[12:13]
	v_lshlrev_b64 v[9:10], 1, v[9:10]
	s_delay_alu instid0(VALU_DEP_1) | instskip(NEXT) | instid1(VALU_DEP_1)
	v_add_co_u32 v9, s0, s2, v9
	v_add_co_ci_u32_e64 v10, s0, s3, v10, s0
	s_delay_alu instid0(VALU_DEP_2) | instskip(NEXT) | instid1(VALU_DEP_1)
	v_add_co_u32 v9, s0, v9, v12
	v_add_co_ci_u32_e64 v10, s0, v10, v13, s0
	v_and_b32_e32 v13, 0xffff0000, v11
	global_load_b32 v12, v[9:10], off offset:64
	s_branch .LBB12_627
.LBB12_626:                             ;   in Loop: Header=BB12_627 Depth=1
	s_or_b32 exec_lo, exec_lo, s6
	v_lshrrev_b32_e32 v11, 16, v11
	s_delay_alu instid0(VALU_DEP_1) | instskip(SKIP_4) | instid1(VALU_DEP_2)
	v_and_or_b32 v11, 0xffff0000, v17, v11
	global_atomic_cmpswap_b32 v11, v[9:10], v[11:12], off offset:64 glc
	s_waitcnt vmcnt(0)
	v_cmp_eq_u32_e64 s0, v11, v12
	v_mov_b32_e32 v12, v11
	s_or_b32 s1, s0, s1
	s_delay_alu instid0(SALU_CYCLE_1)
	s_and_not1_b32 exec_lo, exec_lo, s1
	s_cbranch_execz .LBB12_635
.LBB12_627:                             ; =>This Inner Loop Header: Depth=1
	s_waitcnt vmcnt(0)
	v_lshlrev_b32_e32 v11, 16, v12
	s_delay_alu instid0(VALU_DEP_1) | instskip(NEXT) | instid1(VALU_DEP_1)
	v_add_f32_e32 v15, v13, v11
	v_and_b32_e32 v11, 0x7f800000, v15
	s_delay_alu instid0(VALU_DEP_1) | instskip(NEXT) | instid1(VALU_DEP_1)
	v_cmp_ne_u32_e64 s0, 0x7f800000, v11
                                        ; implicit-def: $vgpr11
	s_and_saveexec_b32 s6, s0
	s_delay_alu instid0(SALU_CYCLE_1)
	s_xor_b32 s0, exec_lo, s6
; %bb.628:                              ;   in Loop: Header=BB12_627 Depth=1
	v_bfe_u32 v11, v15, 16, 1
	s_delay_alu instid0(VALU_DEP_1)
	v_add3_u32 v11, v15, v11, 0x7fff
                                        ; implicit-def: $vgpr15
; %bb.629:                              ;   in Loop: Header=BB12_627 Depth=1
	s_and_not1_saveexec_b32 s6, s0
; %bb.630:                              ;   in Loop: Header=BB12_627 Depth=1
	v_and_b32_e32 v11, 0xffff, v15
	v_or_b32_e32 v17, 0x10000, v15
	s_delay_alu instid0(VALU_DEP_2) | instskip(NEXT) | instid1(VALU_DEP_1)
	v_cmp_eq_u32_e64 s0, 0, v11
	v_cndmask_b32_e64 v11, v17, v15, s0
; %bb.631:                              ;   in Loop: Header=BB12_627 Depth=1
	s_or_b32 exec_lo, exec_lo, s6
	v_and_b32_e32 v15, 0xffff0000, v12
	s_delay_alu instid0(VALU_DEP_1) | instskip(NEXT) | instid1(VALU_DEP_1)
	v_add_f32_e32 v15, v14, v15
	v_and_b32_e32 v17, 0x7f800000, v15
	s_delay_alu instid0(VALU_DEP_1) | instskip(NEXT) | instid1(VALU_DEP_1)
	v_cmp_ne_u32_e64 s0, 0x7f800000, v17
                                        ; implicit-def: $vgpr17
	s_and_saveexec_b32 s6, s0
	s_delay_alu instid0(SALU_CYCLE_1)
	s_xor_b32 s0, exec_lo, s6
; %bb.632:                              ;   in Loop: Header=BB12_627 Depth=1
	v_bfe_u32 v17, v15, 16, 1
	s_delay_alu instid0(VALU_DEP_1)
	v_add3_u32 v17, v15, v17, 0x7fff
                                        ; implicit-def: $vgpr15
; %bb.633:                              ;   in Loop: Header=BB12_627 Depth=1
	s_and_not1_saveexec_b32 s6, s0
	s_cbranch_execz .LBB12_626
; %bb.634:                              ;   in Loop: Header=BB12_627 Depth=1
	v_and_b32_e32 v17, 0xffff, v15
	v_or_b32_e32 v18, 0x10000, v15
	s_delay_alu instid0(VALU_DEP_2) | instskip(NEXT) | instid1(VALU_DEP_1)
	v_cmp_eq_u32_e64 s0, 0, v17
	v_cndmask_b32_e64 v17, v18, v15, s0
	s_branch .LBB12_626
.LBB12_635:
	s_or_b32 exec_lo, exec_lo, s5
	ds_bpermute_b32 v19, v22, v16
	s_and_saveexec_b32 s1, vcc_lo
	s_cbranch_execz .LBB12_655
; %bb.636:
	v_or3_b32 v18, v46, v47, 14
	v_cmp_gt_i32_e64 s0, s17, v21
	s_delay_alu instid0(VALU_DEP_2) | instskip(NEXT) | instid1(VALU_DEP_2)
	v_cmp_gt_i32_e32 vcc_lo, s16, v18
	s_and_b32 s0, vcc_lo, s0
	s_delay_alu instid0(SALU_CYCLE_1)
	s_and_b32 exec_lo, exec_lo, s0
	s_cbranch_execz .LBB12_655
; %bb.637:
	v_and_b32_e32 v9, 0x7f800000, v16
	s_mov_b32 s0, exec_lo
                                        ; implicit-def: $vgpr17
	s_delay_alu instid0(VALU_DEP_1)
	v_cmpx_ne_u32_e32 0x7f800000, v9
	s_xor_b32 s0, exec_lo, s0
; %bb.638:
	v_bfe_u32 v9, v16, 16, 1
	s_delay_alu instid0(VALU_DEP_1)
	v_add3_u32 v17, v16, v9, 0x7fff
                                        ; implicit-def: $vgpr9_vgpr10_vgpr11_vgpr12_vgpr13_vgpr14_vgpr15_vgpr16
; %bb.639:
	s_and_not1_saveexec_b32 s0, s0
	s_cbranch_execz .LBB12_641
; %bb.640:
	v_and_b32_e32 v9, 0xffff, v16
	s_waitcnt lgkmcnt(1)
	v_or_b32_e32 v10, 0x10000, v16
	s_delay_alu instid0(VALU_DEP_2) | instskip(NEXT) | instid1(VALU_DEP_2)
	v_cmp_eq_u32_e32 vcc_lo, 0, v9
	v_cndmask_b32_e32 v17, v10, v16, vcc_lo
.LBB12_641:
	s_or_b32 exec_lo, exec_lo, s0
	s_waitcnt lgkmcnt(0)
	v_and_b32_e32 v9, 0x7f800000, v19
	s_mov_b32 s0, exec_lo
                                        ; implicit-def: $vgpr11
	s_delay_alu instid0(VALU_DEP_1)
	v_cmpx_ne_u32_e32 0x7f800000, v9
	s_xor_b32 s0, exec_lo, s0
; %bb.642:
	v_bfe_u32 v9, v19, 16, 1
	s_delay_alu instid0(VALU_DEP_1)
	v_add3_u32 v11, v19, v9, 0x7fff
                                        ; implicit-def: $vgpr19
; %bb.643:
	s_and_not1_saveexec_b32 s0, s0
; %bb.644:
	v_and_b32_e32 v9, 0xffff, v19
	v_or_b32_e32 v10, 0x10000, v19
	s_delay_alu instid0(VALU_DEP_2) | instskip(NEXT) | instid1(VALU_DEP_2)
	v_cmp_eq_u32_e32 vcc_lo, 0, v9
	v_cndmask_b32_e32 v11, v10, v19, vcc_lo
; %bb.645:
	s_or_b32 exec_lo, exec_lo, s0
	v_mul_lo_u32 v9, v18, s17
	s_ashr_i32 s0, s14, 31
	v_add_co_u32 v12, s5, s14, v45
	s_delay_alu instid0(VALU_DEP_1) | instskip(SKIP_2) | instid1(VALU_DEP_4)
	v_add_co_ci_u32_e64 v13, null, s0, 0, s5
	v_and_b32_e32 v14, 0xffff0000, v11
	s_mov_b32 s0, 0
	v_ashrrev_i32_e32 v10, 31, v9
	s_delay_alu instid0(VALU_DEP_3) | instskip(NEXT) | instid1(VALU_DEP_2)
	v_lshlrev_b64 v[12:13], 1, v[12:13]
	v_lshlrev_b64 v[9:10], 1, v[9:10]
	s_delay_alu instid0(VALU_DEP_1) | instskip(NEXT) | instid1(VALU_DEP_2)
	v_add_co_u32 v9, vcc_lo, s2, v9
	v_add_co_ci_u32_e32 v10, vcc_lo, s3, v10, vcc_lo
	s_delay_alu instid0(VALU_DEP_2) | instskip(NEXT) | instid1(VALU_DEP_2)
	v_add_co_u32 v9, vcc_lo, v9, v12
	v_add_co_ci_u32_e32 v10, vcc_lo, v10, v13, vcc_lo
	v_and_b32_e32 v13, 0xffff0000, v17
	global_load_b32 v12, v[9:10], off offset:64
	s_branch .LBB12_647
.LBB12_646:                             ;   in Loop: Header=BB12_647 Depth=1
	s_or_b32 exec_lo, exec_lo, s5
	v_lshrrev_b32_e32 v11, 16, v11
	s_delay_alu instid0(VALU_DEP_1)
	v_and_or_b32 v11, 0xffff0000, v16, v11
	global_atomic_cmpswap_b32 v11, v[9:10], v[11:12], off offset:64 glc
	s_waitcnt vmcnt(0)
	v_cmp_eq_u32_e32 vcc_lo, v11, v12
	v_mov_b32_e32 v12, v11
	s_or_b32 s0, vcc_lo, s0
	s_delay_alu instid0(SALU_CYCLE_1)
	s_and_not1_b32 exec_lo, exec_lo, s0
	s_cbranch_execz .LBB12_655
.LBB12_647:                             ; =>This Inner Loop Header: Depth=1
	s_waitcnt vmcnt(0)
	v_lshlrev_b32_e32 v11, 16, v12
	s_delay_alu instid0(VALU_DEP_1) | instskip(NEXT) | instid1(VALU_DEP_1)
	v_add_f32_e32 v15, v13, v11
	v_and_b32_e32 v11, 0x7f800000, v15
	s_delay_alu instid0(VALU_DEP_1) | instskip(SKIP_1) | instid1(SALU_CYCLE_1)
	v_cmp_ne_u32_e32 vcc_lo, 0x7f800000, v11
                                        ; implicit-def: $vgpr11
	s_and_saveexec_b32 s5, vcc_lo
	s_xor_b32 s5, exec_lo, s5
; %bb.648:                              ;   in Loop: Header=BB12_647 Depth=1
	v_bfe_u32 v11, v15, 16, 1
	s_delay_alu instid0(VALU_DEP_1)
	v_add3_u32 v11, v15, v11, 0x7fff
                                        ; implicit-def: $vgpr15
; %bb.649:                              ;   in Loop: Header=BB12_647 Depth=1
	s_and_not1_saveexec_b32 s5, s5
; %bb.650:                              ;   in Loop: Header=BB12_647 Depth=1
	v_and_b32_e32 v11, 0xffff, v15
	v_or_b32_e32 v16, 0x10000, v15
	s_delay_alu instid0(VALU_DEP_2) | instskip(NEXT) | instid1(VALU_DEP_2)
	v_cmp_eq_u32_e32 vcc_lo, 0, v11
	v_cndmask_b32_e32 v11, v16, v15, vcc_lo
; %bb.651:                              ;   in Loop: Header=BB12_647 Depth=1
	s_or_b32 exec_lo, exec_lo, s5
	v_and_b32_e32 v15, 0xffff0000, v12
	s_delay_alu instid0(VALU_DEP_1) | instskip(NEXT) | instid1(VALU_DEP_1)
	v_add_f32_e32 v15, v14, v15
	v_and_b32_e32 v16, 0x7f800000, v15
	s_delay_alu instid0(VALU_DEP_1) | instskip(SKIP_1) | instid1(SALU_CYCLE_1)
	v_cmp_ne_u32_e32 vcc_lo, 0x7f800000, v16
                                        ; implicit-def: $vgpr16
	s_and_saveexec_b32 s5, vcc_lo
	s_xor_b32 s5, exec_lo, s5
; %bb.652:                              ;   in Loop: Header=BB12_647 Depth=1
	v_bfe_u32 v16, v15, 16, 1
	s_delay_alu instid0(VALU_DEP_1)
	v_add3_u32 v16, v15, v16, 0x7fff
                                        ; implicit-def: $vgpr15
; %bb.653:                              ;   in Loop: Header=BB12_647 Depth=1
	s_and_not1_saveexec_b32 s5, s5
	s_cbranch_execz .LBB12_646
; %bb.654:                              ;   in Loop: Header=BB12_647 Depth=1
	v_and_b32_e32 v16, 0xffff, v15
	v_or_b32_e32 v17, 0x10000, v15
	s_delay_alu instid0(VALU_DEP_2) | instskip(NEXT) | instid1(VALU_DEP_2)
	v_cmp_eq_u32_e32 vcc_lo, 0, v16
	v_cndmask_b32_e32 v16, v17, v15, vcc_lo
	s_branch .LBB12_646
.LBB12_655:
	s_or_b32 exec_lo, exec_lo, s1
	s_or_b32 s0, s14, 48
	s_and_b32 vcc_lo, exec_lo, s4
	s_mov_b32 s1, -1
	s_cbranch_vccz .LBB12_22
.LBB12_656:
	v_or_b32_e32 v9, s0, v45
	s_mov_b32 s1, exec_lo
	s_delay_alu instid0(VALU_DEP_1)
	v_cmpx_gt_i32_e64 s17, v9
	s_cbranch_execz .LBB12_705
; %bb.657:
	v_or_b32_e32 v9, v47, v46
	s_mov_b32 s4, exec_lo
	s_delay_alu instid0(VALU_DEP_1)
	v_cmpx_gt_i32_e64 s16, v9
	s_cbranch_execz .LBB12_663
; %bb.658:
	s_waitcnt lgkmcnt(1)
	v_and_b32_e32 v10, 0x7f800000, v1
	s_delay_alu instid0(VALU_DEP_1) | instskip(SKIP_1) | instid1(SALU_CYCLE_1)
	v_cmp_ne_u32_e32 vcc_lo, 0x7f800000, v10
                                        ; implicit-def: $vgpr10
	s_and_saveexec_b32 s5, vcc_lo
	s_xor_b32 s5, exec_lo, s5
; %bb.659:
	v_bfe_u32 v10, v1, 16, 1
	s_delay_alu instid0(VALU_DEP_1)
	v_add3_u32 v10, v1, v10, 0x7fff
; %bb.660:
	s_and_not1_saveexec_b32 s5, s5
; %bb.661:
	v_and_b32_e32 v10, 0xffff, v1
	v_or_b32_e32 v11, 0x10000, v1
	s_delay_alu instid0(VALU_DEP_2) | instskip(NEXT) | instid1(VALU_DEP_2)
	v_cmp_eq_u32_e32 vcc_lo, 0, v10
	v_cndmask_b32_e32 v10, v11, v1, vcc_lo
; %bb.662:
	s_or_b32 exec_lo, exec_lo, s5
	v_mul_lo_u32 v11, v9, s17
	s_ashr_i32 s5, s14, 31
	v_add_co_u32 v13, s6, s14, v45
	s_delay_alu instid0(VALU_DEP_1) | instskip(NEXT) | instid1(VALU_DEP_3)
	v_add_co_ci_u32_e64 v14, null, s5, 0, s6
	v_ashrrev_i32_e32 v12, 31, v11
	s_delay_alu instid0(VALU_DEP_2) | instskip(NEXT) | instid1(VALU_DEP_2)
	v_lshlrev_b64 v[13:14], 1, v[13:14]
	v_lshlrev_b64 v[11:12], 1, v[11:12]
	s_delay_alu instid0(VALU_DEP_1) | instskip(NEXT) | instid1(VALU_DEP_2)
	v_add_co_u32 v11, vcc_lo, s2, v11
	v_add_co_ci_u32_e32 v12, vcc_lo, s3, v12, vcc_lo
	s_delay_alu instid0(VALU_DEP_2) | instskip(NEXT) | instid1(VALU_DEP_2)
	v_add_co_u32 v11, vcc_lo, v11, v13
	v_add_co_ci_u32_e32 v12, vcc_lo, v12, v14, vcc_lo
	global_store_d16_hi_b16 v[11:12], v10, off offset:96
.LBB12_663:
	s_or_b32 exec_lo, exec_lo, s4
	v_or_b32_e32 v11, 2, v9
	s_mov_b32 s4, exec_lo
	s_delay_alu instid0(VALU_DEP_1)
	v_cmpx_gt_i32_e64 s16, v11
	s_cbranch_execz .LBB12_669
; %bb.664:
	s_waitcnt lgkmcnt(1)
	v_and_b32_e32 v10, 0x7f800000, v2
	s_delay_alu instid0(VALU_DEP_1) | instskip(SKIP_1) | instid1(SALU_CYCLE_1)
	v_cmp_ne_u32_e32 vcc_lo, 0x7f800000, v10
                                        ; implicit-def: $vgpr10
	s_and_saveexec_b32 s5, vcc_lo
	s_xor_b32 s5, exec_lo, s5
; %bb.665:
	v_bfe_u32 v10, v2, 16, 1
	s_delay_alu instid0(VALU_DEP_1)
	v_add3_u32 v10, v2, v10, 0x7fff
; %bb.666:
	s_and_not1_saveexec_b32 s5, s5
; %bb.667:
	v_and_b32_e32 v10, 0xffff, v2
	v_or_b32_e32 v12, 0x10000, v2
	s_delay_alu instid0(VALU_DEP_2) | instskip(NEXT) | instid1(VALU_DEP_2)
	v_cmp_eq_u32_e32 vcc_lo, 0, v10
	v_cndmask_b32_e32 v10, v12, v2, vcc_lo
; %bb.668:
	s_or_b32 exec_lo, exec_lo, s5
	v_mul_lo_u32 v11, v11, s17
	s_ashr_i32 s5, s14, 31
	v_add_co_u32 v13, s6, s14, v45
	s_delay_alu instid0(VALU_DEP_1) | instskip(NEXT) | instid1(VALU_DEP_3)
	v_add_co_ci_u32_e64 v14, null, s5, 0, s6
	v_ashrrev_i32_e32 v12, 31, v11
	s_delay_alu instid0(VALU_DEP_2) | instskip(NEXT) | instid1(VALU_DEP_2)
	v_lshlrev_b64 v[13:14], 1, v[13:14]
	v_lshlrev_b64 v[11:12], 1, v[11:12]
	s_delay_alu instid0(VALU_DEP_1) | instskip(NEXT) | instid1(VALU_DEP_2)
	v_add_co_u32 v11, vcc_lo, s2, v11
	v_add_co_ci_u32_e32 v12, vcc_lo, s3, v12, vcc_lo
	s_delay_alu instid0(VALU_DEP_2) | instskip(NEXT) | instid1(VALU_DEP_2)
	v_add_co_u32 v11, vcc_lo, v11, v13
	v_add_co_ci_u32_e32 v12, vcc_lo, v12, v14, vcc_lo
	global_store_d16_hi_b16 v[11:12], v10, off offset:96
.LBB12_669:
	s_or_b32 exec_lo, exec_lo, s4
	;; [unrolled: 45-line block ×7, first 2 shown]
	s_waitcnt lgkmcnt(1)
	v_or_b32_e32 v10, 14, v9
	s_delay_alu instid0(VALU_DEP_1)
	v_cmp_gt_i32_e32 vcc_lo, s16, v10
	s_and_b32 exec_lo, exec_lo, vcc_lo
	s_cbranch_execz .LBB12_705
; %bb.700:
	v_and_b32_e32 v9, 0x7f800000, v8
	s_delay_alu instid0(VALU_DEP_1) | instskip(SKIP_1) | instid1(SALU_CYCLE_1)
	v_cmp_ne_u32_e32 vcc_lo, 0x7f800000, v9
                                        ; implicit-def: $vgpr9
	s_and_saveexec_b32 s4, vcc_lo
	s_xor_b32 s4, exec_lo, s4
; %bb.701:
	v_bfe_u32 v9, v8, 16, 1
	s_delay_alu instid0(VALU_DEP_1)
	v_add3_u32 v9, v8, v9, 0x7fff
; %bb.702:
	s_and_not1_saveexec_b32 s4, s4
; %bb.703:
	v_and_b32_e32 v9, 0xffff, v8
	v_or_b32_e32 v11, 0x10000, v8
	s_delay_alu instid0(VALU_DEP_2) | instskip(NEXT) | instid1(VALU_DEP_2)
	v_cmp_eq_u32_e32 vcc_lo, 0, v9
	v_cndmask_b32_e32 v9, v11, v8, vcc_lo
; %bb.704:
	s_or_b32 exec_lo, exec_lo, s4
	v_mul_lo_u32 v10, v10, s17
	s_ashr_i32 s4, s14, 31
	v_add_co_u32 v12, s5, s14, v45
	s_delay_alu instid0(VALU_DEP_1) | instskip(NEXT) | instid1(VALU_DEP_3)
	v_add_co_ci_u32_e64 v13, null, s4, 0, s5
	v_ashrrev_i32_e32 v11, 31, v10
	s_delay_alu instid0(VALU_DEP_2) | instskip(NEXT) | instid1(VALU_DEP_2)
	v_lshlrev_b64 v[12:13], 1, v[12:13]
	v_lshlrev_b64 v[10:11], 1, v[10:11]
	s_delay_alu instid0(VALU_DEP_1) | instskip(NEXT) | instid1(VALU_DEP_2)
	v_add_co_u32 v10, vcc_lo, s2, v10
	v_add_co_ci_u32_e32 v11, vcc_lo, s3, v11, vcc_lo
	s_delay_alu instid0(VALU_DEP_2) | instskip(NEXT) | instid1(VALU_DEP_2)
	v_add_co_u32 v10, vcc_lo, v10, v12
	v_add_co_ci_u32_e32 v11, vcc_lo, v11, v13, vcc_lo
	global_store_d16_hi_b16 v[10:11], v9, off offset:96
.LBB12_705:
	s_or_b32 exec_lo, exec_lo, s1
	s_cbranch_execnz .LBB12_866
.LBB12_706:
	v_mbcnt_lo_u32_b32 v9, -1, 0
	v_or_b32_e32 v11, s0, v45
	v_and_b32_e32 v0, 1, v0
	s_waitcnt lgkmcnt(1)
	s_delay_alu instid0(VALU_DEP_3) | instskip(NEXT) | instid1(VALU_DEP_1)
	v_xor_b32_e32 v10, 1, v9
	v_cmp_gt_i32_e32 vcc_lo, 32, v10
	v_cndmask_b32_e32 v9, v9, v10, vcc_lo
	v_cmp_eq_u32_e32 vcc_lo, 0, v0
	s_delay_alu instid0(VALU_DEP_2)
	v_lshlrev_b32_e32 v12, 2, v9
	ds_bpermute_b32 v10, v12, v1
	s_and_saveexec_b32 s4, vcc_lo
	s_cbranch_execz .LBB12_726
; %bb.707:
	v_or_b32_e32 v0, v47, v46
	v_cmp_gt_i32_e64 s1, s17, v11
	s_delay_alu instid0(VALU_DEP_2) | instskip(NEXT) | instid1(VALU_DEP_1)
	v_cmp_gt_i32_e64 s0, s16, v0
	s_and_b32 s0, s0, s1
	s_delay_alu instid0(SALU_CYCLE_1)
	s_and_b32 exec_lo, exec_lo, s0
	s_cbranch_execz .LBB12_726
; %bb.708:
	v_and_b32_e32 v9, 0x7f800000, v1
	s_delay_alu instid0(VALU_DEP_1) | instskip(NEXT) | instid1(VALU_DEP_1)
	v_cmp_ne_u32_e64 s0, 0x7f800000, v9
                                        ; implicit-def: $vgpr9
	s_and_saveexec_b32 s1, s0
	s_delay_alu instid0(SALU_CYCLE_1)
	s_xor_b32 s0, exec_lo, s1
; %bb.709:
	v_bfe_u32 v9, v1, 16, 1
	s_delay_alu instid0(VALU_DEP_1)
	v_add3_u32 v9, v1, v9, 0x7fff
; %bb.710:
	s_and_not1_saveexec_b32 s1, s0
; %bb.711:
	v_and_b32_e32 v9, 0xffff, v1
	v_or_b32_e32 v13, 0x10000, v1
	s_delay_alu instid0(VALU_DEP_2) | instskip(NEXT) | instid1(VALU_DEP_1)
	v_cmp_eq_u32_e64 s0, 0, v9
	v_cndmask_b32_e64 v9, v13, v1, s0
; %bb.712:
	s_or_b32 exec_lo, exec_lo, s1
	s_waitcnt lgkmcnt(0)
	v_and_b32_e32 v1, 0x7f800000, v10
                                        ; implicit-def: $vgpr14
	s_delay_alu instid0(VALU_DEP_1) | instskip(NEXT) | instid1(VALU_DEP_1)
	v_cmp_ne_u32_e64 s0, 0x7f800000, v1
	s_and_saveexec_b32 s1, s0
	s_delay_alu instid0(SALU_CYCLE_1)
	s_xor_b32 s0, exec_lo, s1
; %bb.713:
	v_bfe_u32 v1, v10, 16, 1
	s_delay_alu instid0(VALU_DEP_1)
	v_add3_u32 v14, v10, v1, 0x7fff
                                        ; implicit-def: $vgpr10
; %bb.714:
	s_and_not1_saveexec_b32 s1, s0
; %bb.715:
	v_and_b32_e32 v1, 0xffff, v10
	v_or_b32_e32 v13, 0x10000, v10
	s_delay_alu instid0(VALU_DEP_2) | instskip(NEXT) | instid1(VALU_DEP_1)
	v_cmp_eq_u32_e64 s0, 0, v1
	v_cndmask_b32_e64 v14, v13, v10, s0
; %bb.716:
	s_or_b32 exec_lo, exec_lo, s1
	v_mul_lo_u32 v0, v0, s17
	s_ashr_i32 s0, s14, 31
	v_add_co_u32 v15, s1, s14, v45
	s_delay_alu instid0(VALU_DEP_1) | instskip(SKIP_3) | instid1(VALU_DEP_4)
	v_add_co_ci_u32_e64 v16, null, s0, 0, s1
	v_and_b32_e32 v13, 0xffff0000, v9
	v_and_b32_e32 v14, 0xffff0000, v14
	v_ashrrev_i32_e32 v1, 31, v0
	v_lshlrev_b64 v[15:16], 1, v[15:16]
	s_mov_b32 s1, 0
	s_delay_alu instid0(VALU_DEP_2) | instskip(NEXT) | instid1(VALU_DEP_1)
	v_lshlrev_b64 v[0:1], 1, v[0:1]
	v_add_co_u32 v0, s0, s2, v0
	s_delay_alu instid0(VALU_DEP_1) | instskip(NEXT) | instid1(VALU_DEP_2)
	v_add_co_ci_u32_e64 v1, s0, s3, v1, s0
	v_add_co_u32 v0, s0, v0, v15
	s_delay_alu instid0(VALU_DEP_1)
	v_add_co_ci_u32_e64 v1, s0, v1, v16, s0
	global_load_b32 v10, v[0:1], off offset:96
	s_branch .LBB12_718
.LBB12_717:                             ;   in Loop: Header=BB12_718 Depth=1
	s_or_b32 exec_lo, exec_lo, s5
	v_lshrrev_b32_e32 v9, 16, v9
	s_delay_alu instid0(VALU_DEP_1) | instskip(SKIP_4) | instid1(VALU_DEP_2)
	v_and_or_b32 v9, 0xffff0000, v16, v9
	global_atomic_cmpswap_b32 v9, v[0:1], v[9:10], off offset:96 glc
	s_waitcnt vmcnt(0)
	v_cmp_eq_u32_e64 s0, v9, v10
	v_mov_b32_e32 v10, v9
	s_or_b32 s1, s0, s1
	s_delay_alu instid0(SALU_CYCLE_1)
	s_and_not1_b32 exec_lo, exec_lo, s1
	s_cbranch_execz .LBB12_726
.LBB12_718:                             ; =>This Inner Loop Header: Depth=1
	s_waitcnt vmcnt(0)
	v_lshlrev_b32_e32 v9, 16, v10
	s_delay_alu instid0(VALU_DEP_1) | instskip(NEXT) | instid1(VALU_DEP_1)
	v_add_f32_e32 v15, v13, v9
	v_and_b32_e32 v9, 0x7f800000, v15
	s_delay_alu instid0(VALU_DEP_1) | instskip(NEXT) | instid1(VALU_DEP_1)
	v_cmp_ne_u32_e64 s0, 0x7f800000, v9
                                        ; implicit-def: $vgpr9
	s_and_saveexec_b32 s5, s0
	s_delay_alu instid0(SALU_CYCLE_1)
	s_xor_b32 s0, exec_lo, s5
; %bb.719:                              ;   in Loop: Header=BB12_718 Depth=1
	v_bfe_u32 v9, v15, 16, 1
	s_delay_alu instid0(VALU_DEP_1)
	v_add3_u32 v9, v15, v9, 0x7fff
                                        ; implicit-def: $vgpr15
; %bb.720:                              ;   in Loop: Header=BB12_718 Depth=1
	s_and_not1_saveexec_b32 s5, s0
; %bb.721:                              ;   in Loop: Header=BB12_718 Depth=1
	v_and_b32_e32 v9, 0xffff, v15
	v_or_b32_e32 v16, 0x10000, v15
	s_delay_alu instid0(VALU_DEP_2) | instskip(NEXT) | instid1(VALU_DEP_1)
	v_cmp_eq_u32_e64 s0, 0, v9
	v_cndmask_b32_e64 v9, v16, v15, s0
; %bb.722:                              ;   in Loop: Header=BB12_718 Depth=1
	s_or_b32 exec_lo, exec_lo, s5
	v_and_b32_e32 v15, 0xffff0000, v10
	s_delay_alu instid0(VALU_DEP_1) | instskip(NEXT) | instid1(VALU_DEP_1)
	v_add_f32_e32 v15, v14, v15
	v_and_b32_e32 v16, 0x7f800000, v15
	s_delay_alu instid0(VALU_DEP_1) | instskip(NEXT) | instid1(VALU_DEP_1)
	v_cmp_ne_u32_e64 s0, 0x7f800000, v16
                                        ; implicit-def: $vgpr16
	s_and_saveexec_b32 s5, s0
	s_delay_alu instid0(SALU_CYCLE_1)
	s_xor_b32 s0, exec_lo, s5
; %bb.723:                              ;   in Loop: Header=BB12_718 Depth=1
	v_bfe_u32 v16, v15, 16, 1
	s_delay_alu instid0(VALU_DEP_1)
	v_add3_u32 v16, v15, v16, 0x7fff
                                        ; implicit-def: $vgpr15
; %bb.724:                              ;   in Loop: Header=BB12_718 Depth=1
	s_and_not1_saveexec_b32 s5, s0
	s_cbranch_execz .LBB12_717
; %bb.725:                              ;   in Loop: Header=BB12_718 Depth=1
	v_and_b32_e32 v16, 0xffff, v15
	v_or_b32_e32 v17, 0x10000, v15
	s_delay_alu instid0(VALU_DEP_2) | instskip(NEXT) | instid1(VALU_DEP_1)
	v_cmp_eq_u32_e64 s0, 0, v16
	v_cndmask_b32_e64 v16, v17, v15, s0
	s_branch .LBB12_717
.LBB12_726:
	s_or_b32 exec_lo, exec_lo, s4
	ds_bpermute_b32 v1, v12, v2
	s_and_saveexec_b32 s4, vcc_lo
	s_cbranch_execz .LBB12_746
; %bb.727:
	v_or3_b32 v0, v46, v47, 2
	v_cmp_gt_i32_e64 s1, s17, v11
	s_delay_alu instid0(VALU_DEP_2) | instskip(NEXT) | instid1(VALU_DEP_1)
	v_cmp_gt_i32_e64 s0, s16, v0
	s_and_b32 s0, s0, s1
	s_delay_alu instid0(SALU_CYCLE_1)
	s_and_b32 exec_lo, exec_lo, s0
	s_cbranch_execz .LBB12_746
; %bb.728:
	v_and_b32_e32 v9, 0x7f800000, v2
	s_delay_alu instid0(VALU_DEP_1) | instskip(NEXT) | instid1(VALU_DEP_1)
	v_cmp_ne_u32_e64 s0, 0x7f800000, v9
                                        ; implicit-def: $vgpr9
	s_and_saveexec_b32 s1, s0
	s_delay_alu instid0(SALU_CYCLE_1)
	s_xor_b32 s0, exec_lo, s1
; %bb.729:
	v_bfe_u32 v9, v2, 16, 1
	s_delay_alu instid0(VALU_DEP_1)
	v_add3_u32 v9, v2, v9, 0x7fff
; %bb.730:
	s_and_not1_saveexec_b32 s1, s0
	s_cbranch_execz .LBB12_732
; %bb.731:
	v_and_b32_e32 v9, 0xffff, v2
	s_waitcnt lgkmcnt(1)
	v_or_b32_e32 v10, 0x10000, v2
	s_delay_alu instid0(VALU_DEP_2) | instskip(NEXT) | instid1(VALU_DEP_1)
	v_cmp_eq_u32_e64 s0, 0, v9
	v_cndmask_b32_e64 v9, v10, v2, s0
.LBB12_732:
	s_or_b32 exec_lo, exec_lo, s1
	s_waitcnt lgkmcnt(0)
	v_and_b32_e32 v2, 0x7f800000, v1
                                        ; implicit-def: $vgpr13
	s_delay_alu instid0(VALU_DEP_1) | instskip(NEXT) | instid1(VALU_DEP_1)
	v_cmp_ne_u32_e64 s0, 0x7f800000, v2
	s_and_saveexec_b32 s1, s0
	s_delay_alu instid0(SALU_CYCLE_1)
	s_xor_b32 s0, exec_lo, s1
; %bb.733:
	v_bfe_u32 v2, v1, 16, 1
	s_delay_alu instid0(VALU_DEP_1)
	v_add3_u32 v13, v1, v2, 0x7fff
                                        ; implicit-def: $vgpr1
; %bb.734:
	s_and_not1_saveexec_b32 s1, s0
; %bb.735:
	v_and_b32_e32 v2, 0xffff, v1
	v_or_b32_e32 v10, 0x10000, v1
	s_delay_alu instid0(VALU_DEP_2) | instskip(NEXT) | instid1(VALU_DEP_1)
	v_cmp_eq_u32_e64 s0, 0, v2
	v_cndmask_b32_e64 v13, v10, v1, s0
; %bb.736:
	s_or_b32 exec_lo, exec_lo, s1
	v_mul_lo_u32 v0, v0, s17
	s_ashr_i32 s0, s14, 31
	v_add_co_u32 v14, s1, s14, v45
	s_delay_alu instid0(VALU_DEP_1) | instskip(SKIP_3) | instid1(VALU_DEP_4)
	v_add_co_ci_u32_e64 v15, null, s0, 0, s1
	v_and_b32_e32 v2, 0xffff0000, v9
	v_and_b32_e32 v13, 0xffff0000, v13
	v_ashrrev_i32_e32 v1, 31, v0
	v_lshlrev_b64 v[14:15], 1, v[14:15]
	s_mov_b32 s1, 0
	s_delay_alu instid0(VALU_DEP_2) | instskip(NEXT) | instid1(VALU_DEP_1)
	v_lshlrev_b64 v[0:1], 1, v[0:1]
	v_add_co_u32 v0, s0, s2, v0
	s_delay_alu instid0(VALU_DEP_1) | instskip(NEXT) | instid1(VALU_DEP_2)
	v_add_co_ci_u32_e64 v1, s0, s3, v1, s0
	v_add_co_u32 v0, s0, v0, v14
	s_delay_alu instid0(VALU_DEP_1)
	v_add_co_ci_u32_e64 v1, s0, v1, v15, s0
	global_load_b32 v10, v[0:1], off offset:96
	s_branch .LBB12_738
.LBB12_737:                             ;   in Loop: Header=BB12_738 Depth=1
	s_or_b32 exec_lo, exec_lo, s5
	v_lshrrev_b32_e32 v9, 16, v9
	s_delay_alu instid0(VALU_DEP_1) | instskip(SKIP_4) | instid1(VALU_DEP_2)
	v_and_or_b32 v9, 0xffff0000, v15, v9
	global_atomic_cmpswap_b32 v9, v[0:1], v[9:10], off offset:96 glc
	s_waitcnt vmcnt(0)
	v_cmp_eq_u32_e64 s0, v9, v10
	v_mov_b32_e32 v10, v9
	s_or_b32 s1, s0, s1
	s_delay_alu instid0(SALU_CYCLE_1)
	s_and_not1_b32 exec_lo, exec_lo, s1
	s_cbranch_execz .LBB12_746
.LBB12_738:                             ; =>This Inner Loop Header: Depth=1
	s_waitcnt vmcnt(0)
	v_lshlrev_b32_e32 v9, 16, v10
	s_delay_alu instid0(VALU_DEP_1) | instskip(NEXT) | instid1(VALU_DEP_1)
	v_add_f32_e32 v14, v2, v9
	v_and_b32_e32 v9, 0x7f800000, v14
	s_delay_alu instid0(VALU_DEP_1) | instskip(NEXT) | instid1(VALU_DEP_1)
	v_cmp_ne_u32_e64 s0, 0x7f800000, v9
                                        ; implicit-def: $vgpr9
	s_and_saveexec_b32 s5, s0
	s_delay_alu instid0(SALU_CYCLE_1)
	s_xor_b32 s0, exec_lo, s5
; %bb.739:                              ;   in Loop: Header=BB12_738 Depth=1
	v_bfe_u32 v9, v14, 16, 1
	s_delay_alu instid0(VALU_DEP_1)
	v_add3_u32 v9, v14, v9, 0x7fff
                                        ; implicit-def: $vgpr14
; %bb.740:                              ;   in Loop: Header=BB12_738 Depth=1
	s_and_not1_saveexec_b32 s5, s0
; %bb.741:                              ;   in Loop: Header=BB12_738 Depth=1
	v_and_b32_e32 v9, 0xffff, v14
	v_or_b32_e32 v15, 0x10000, v14
	s_delay_alu instid0(VALU_DEP_2) | instskip(NEXT) | instid1(VALU_DEP_1)
	v_cmp_eq_u32_e64 s0, 0, v9
	v_cndmask_b32_e64 v9, v15, v14, s0
; %bb.742:                              ;   in Loop: Header=BB12_738 Depth=1
	s_or_b32 exec_lo, exec_lo, s5
	v_and_b32_e32 v14, 0xffff0000, v10
	s_delay_alu instid0(VALU_DEP_1) | instskip(NEXT) | instid1(VALU_DEP_1)
	v_add_f32_e32 v14, v13, v14
	v_and_b32_e32 v15, 0x7f800000, v14
	s_delay_alu instid0(VALU_DEP_1) | instskip(NEXT) | instid1(VALU_DEP_1)
	v_cmp_ne_u32_e64 s0, 0x7f800000, v15
                                        ; implicit-def: $vgpr15
	s_and_saveexec_b32 s5, s0
	s_delay_alu instid0(SALU_CYCLE_1)
	s_xor_b32 s0, exec_lo, s5
; %bb.743:                              ;   in Loop: Header=BB12_738 Depth=1
	v_bfe_u32 v15, v14, 16, 1
	s_delay_alu instid0(VALU_DEP_1)
	v_add3_u32 v15, v14, v15, 0x7fff
                                        ; implicit-def: $vgpr14
; %bb.744:                              ;   in Loop: Header=BB12_738 Depth=1
	s_and_not1_saveexec_b32 s5, s0
	s_cbranch_execz .LBB12_737
; %bb.745:                              ;   in Loop: Header=BB12_738 Depth=1
	v_and_b32_e32 v15, 0xffff, v14
	v_or_b32_e32 v16, 0x10000, v14
	s_delay_alu instid0(VALU_DEP_2) | instskip(NEXT) | instid1(VALU_DEP_1)
	v_cmp_eq_u32_e64 s0, 0, v15
	v_cndmask_b32_e64 v15, v16, v14, s0
	s_branch .LBB12_737
.LBB12_746:
	s_or_b32 exec_lo, exec_lo, s4
	s_waitcnt lgkmcnt(0)
	ds_bpermute_b32 v1, v12, v3
	s_and_saveexec_b32 s4, vcc_lo
	s_cbranch_execz .LBB12_766
; %bb.747:
	v_or3_b32 v0, v46, v47, 4
	v_cmp_gt_i32_e64 s1, s17, v11
	s_delay_alu instid0(VALU_DEP_2) | instskip(NEXT) | instid1(VALU_DEP_1)
	v_cmp_gt_i32_e64 s0, s16, v0
	s_and_b32 s0, s0, s1
	s_delay_alu instid0(SALU_CYCLE_1)
	s_and_b32 exec_lo, exec_lo, s0
	s_cbranch_execz .LBB12_766
; %bb.748:
	v_and_b32_e32 v2, 0x7f800000, v3
	s_delay_alu instid0(VALU_DEP_1) | instskip(NEXT) | instid1(VALU_DEP_1)
	v_cmp_ne_u32_e64 s0, 0x7f800000, v2
                                        ; implicit-def: $vgpr2
	s_and_saveexec_b32 s1, s0
	s_delay_alu instid0(SALU_CYCLE_1)
	s_xor_b32 s0, exec_lo, s1
; %bb.749:
	v_bfe_u32 v2, v3, 16, 1
	s_delay_alu instid0(VALU_DEP_1)
	v_add3_u32 v2, v3, v2, 0x7fff
; %bb.750:
	s_and_not1_saveexec_b32 s1, s0
; %bb.751:
	v_and_b32_e32 v2, 0xffff, v3
	v_or_b32_e32 v9, 0x10000, v3
	s_delay_alu instid0(VALU_DEP_2) | instskip(NEXT) | instid1(VALU_DEP_1)
	v_cmp_eq_u32_e64 s0, 0, v2
	v_cndmask_b32_e64 v2, v9, v3, s0
; %bb.752:
	s_or_b32 exec_lo, exec_lo, s1
	s_waitcnt lgkmcnt(0)
	v_and_b32_e32 v3, 0x7f800000, v1
                                        ; implicit-def: $vgpr10
	s_delay_alu instid0(VALU_DEP_1) | instskip(NEXT) | instid1(VALU_DEP_1)
	v_cmp_ne_u32_e64 s0, 0x7f800000, v3
	s_and_saveexec_b32 s1, s0
	s_delay_alu instid0(SALU_CYCLE_1)
	s_xor_b32 s0, exec_lo, s1
; %bb.753:
	v_bfe_u32 v3, v1, 16, 1
	s_delay_alu instid0(VALU_DEP_1)
	v_add3_u32 v10, v1, v3, 0x7fff
                                        ; implicit-def: $vgpr1
; %bb.754:
	s_and_not1_saveexec_b32 s1, s0
; %bb.755:
	v_and_b32_e32 v3, 0xffff, v1
	v_or_b32_e32 v9, 0x10000, v1
	s_delay_alu instid0(VALU_DEP_2) | instskip(NEXT) | instid1(VALU_DEP_1)
	v_cmp_eq_u32_e64 s0, 0, v3
	v_cndmask_b32_e64 v10, v9, v1, s0
; %bb.756:
	s_or_b32 exec_lo, exec_lo, s1
	v_mul_lo_u32 v0, v0, s17
	s_ashr_i32 s0, s14, 31
	v_add_co_u32 v13, s1, s14, v45
	s_delay_alu instid0(VALU_DEP_1) | instskip(SKIP_3) | instid1(VALU_DEP_4)
	v_add_co_ci_u32_e64 v14, null, s0, 0, s1
	v_and_b32_e32 v9, 0xffff0000, v2
	v_and_b32_e32 v10, 0xffff0000, v10
	v_ashrrev_i32_e32 v1, 31, v0
	v_lshlrev_b64 v[13:14], 1, v[13:14]
	s_mov_b32 s1, 0
	s_delay_alu instid0(VALU_DEP_2) | instskip(NEXT) | instid1(VALU_DEP_1)
	v_lshlrev_b64 v[0:1], 1, v[0:1]
	v_add_co_u32 v0, s0, s2, v0
	s_delay_alu instid0(VALU_DEP_1) | instskip(NEXT) | instid1(VALU_DEP_2)
	v_add_co_ci_u32_e64 v1, s0, s3, v1, s0
	v_add_co_u32 v0, s0, v0, v13
	s_delay_alu instid0(VALU_DEP_1)
	v_add_co_ci_u32_e64 v1, s0, v1, v14, s0
	global_load_b32 v3, v[0:1], off offset:96
	s_branch .LBB12_758
.LBB12_757:                             ;   in Loop: Header=BB12_758 Depth=1
	s_or_b32 exec_lo, exec_lo, s5
	v_lshrrev_b32_e32 v2, 16, v2
	s_delay_alu instid0(VALU_DEP_1) | instskip(SKIP_4) | instid1(VALU_DEP_2)
	v_and_or_b32 v2, 0xffff0000, v14, v2
	global_atomic_cmpswap_b32 v2, v[0:1], v[2:3], off offset:96 glc
	s_waitcnt vmcnt(0)
	v_cmp_eq_u32_e64 s0, v2, v3
	v_mov_b32_e32 v3, v2
	s_or_b32 s1, s0, s1
	s_delay_alu instid0(SALU_CYCLE_1)
	s_and_not1_b32 exec_lo, exec_lo, s1
	s_cbranch_execz .LBB12_766
.LBB12_758:                             ; =>This Inner Loop Header: Depth=1
	s_waitcnt vmcnt(0)
	v_lshlrev_b32_e32 v2, 16, v3
	s_delay_alu instid0(VALU_DEP_1) | instskip(NEXT) | instid1(VALU_DEP_1)
	v_add_f32_e32 v13, v9, v2
	v_and_b32_e32 v2, 0x7f800000, v13
	s_delay_alu instid0(VALU_DEP_1) | instskip(NEXT) | instid1(VALU_DEP_1)
	v_cmp_ne_u32_e64 s0, 0x7f800000, v2
                                        ; implicit-def: $vgpr2
	s_and_saveexec_b32 s5, s0
	s_delay_alu instid0(SALU_CYCLE_1)
	s_xor_b32 s0, exec_lo, s5
; %bb.759:                              ;   in Loop: Header=BB12_758 Depth=1
	v_bfe_u32 v2, v13, 16, 1
	s_delay_alu instid0(VALU_DEP_1)
	v_add3_u32 v2, v13, v2, 0x7fff
                                        ; implicit-def: $vgpr13
; %bb.760:                              ;   in Loop: Header=BB12_758 Depth=1
	s_and_not1_saveexec_b32 s5, s0
; %bb.761:                              ;   in Loop: Header=BB12_758 Depth=1
	v_and_b32_e32 v2, 0xffff, v13
	v_or_b32_e32 v14, 0x10000, v13
	s_delay_alu instid0(VALU_DEP_2) | instskip(NEXT) | instid1(VALU_DEP_1)
	v_cmp_eq_u32_e64 s0, 0, v2
	v_cndmask_b32_e64 v2, v14, v13, s0
; %bb.762:                              ;   in Loop: Header=BB12_758 Depth=1
	s_or_b32 exec_lo, exec_lo, s5
	v_and_b32_e32 v13, 0xffff0000, v3
	s_delay_alu instid0(VALU_DEP_1) | instskip(NEXT) | instid1(VALU_DEP_1)
	v_add_f32_e32 v13, v10, v13
	v_and_b32_e32 v14, 0x7f800000, v13
	s_delay_alu instid0(VALU_DEP_1) | instskip(NEXT) | instid1(VALU_DEP_1)
	v_cmp_ne_u32_e64 s0, 0x7f800000, v14
                                        ; implicit-def: $vgpr14
	s_and_saveexec_b32 s5, s0
	s_delay_alu instid0(SALU_CYCLE_1)
	s_xor_b32 s0, exec_lo, s5
; %bb.763:                              ;   in Loop: Header=BB12_758 Depth=1
	v_bfe_u32 v14, v13, 16, 1
	s_delay_alu instid0(VALU_DEP_1)
	v_add3_u32 v14, v13, v14, 0x7fff
                                        ; implicit-def: $vgpr13
; %bb.764:                              ;   in Loop: Header=BB12_758 Depth=1
	s_and_not1_saveexec_b32 s5, s0
	s_cbranch_execz .LBB12_757
; %bb.765:                              ;   in Loop: Header=BB12_758 Depth=1
	v_and_b32_e32 v14, 0xffff, v13
	v_or_b32_e32 v15, 0x10000, v13
	s_delay_alu instid0(VALU_DEP_2) | instskip(NEXT) | instid1(VALU_DEP_1)
	v_cmp_eq_u32_e64 s0, 0, v14
	v_cndmask_b32_e64 v14, v15, v13, s0
	s_branch .LBB12_757
.LBB12_766:
	s_or_b32 exec_lo, exec_lo, s4
	s_waitcnt lgkmcnt(0)
	ds_bpermute_b32 v1, v12, v4
	s_and_saveexec_b32 s4, vcc_lo
	s_cbranch_execz .LBB12_786
; %bb.767:
	v_or3_b32 v0, v46, v47, 6
	v_cmp_gt_i32_e64 s1, s17, v11
	s_delay_alu instid0(VALU_DEP_2) | instskip(NEXT) | instid1(VALU_DEP_1)
	v_cmp_gt_i32_e64 s0, s16, v0
	s_and_b32 s0, s0, s1
	s_delay_alu instid0(SALU_CYCLE_1)
	s_and_b32 exec_lo, exec_lo, s0
	s_cbranch_execz .LBB12_786
; %bb.768:
	v_and_b32_e32 v2, 0x7f800000, v4
	s_delay_alu instid0(VALU_DEP_1) | instskip(NEXT) | instid1(VALU_DEP_1)
	v_cmp_ne_u32_e64 s0, 0x7f800000, v2
                                        ; implicit-def: $vgpr2
	s_and_saveexec_b32 s1, s0
	s_delay_alu instid0(SALU_CYCLE_1)
	s_xor_b32 s0, exec_lo, s1
; %bb.769:
	v_bfe_u32 v2, v4, 16, 1
	s_delay_alu instid0(VALU_DEP_1)
	v_add3_u32 v2, v4, v2, 0x7fff
; %bb.770:
	s_and_not1_saveexec_b32 s1, s0
; %bb.771:
	v_and_b32_e32 v2, 0xffff, v4
	v_or_b32_e32 v3, 0x10000, v4
	s_delay_alu instid0(VALU_DEP_2) | instskip(NEXT) | instid1(VALU_DEP_1)
	v_cmp_eq_u32_e64 s0, 0, v2
	v_cndmask_b32_e64 v2, v3, v4, s0
; %bb.772:
	s_or_b32 exec_lo, exec_lo, s1
	s_waitcnt lgkmcnt(0)
	v_and_b32_e32 v3, 0x7f800000, v1
                                        ; implicit-def: $vgpr9
	s_delay_alu instid0(VALU_DEP_1) | instskip(NEXT) | instid1(VALU_DEP_1)
	v_cmp_ne_u32_e64 s0, 0x7f800000, v3
	s_and_saveexec_b32 s1, s0
	s_delay_alu instid0(SALU_CYCLE_1)
	s_xor_b32 s0, exec_lo, s1
; %bb.773:
	v_bfe_u32 v3, v1, 16, 1
	s_delay_alu instid0(VALU_DEP_1)
	v_add3_u32 v9, v1, v3, 0x7fff
                                        ; implicit-def: $vgpr1
; %bb.774:
	s_and_not1_saveexec_b32 s1, s0
; %bb.775:
	v_and_b32_e32 v3, 0xffff, v1
	v_or_b32_e32 v4, 0x10000, v1
	s_delay_alu instid0(VALU_DEP_2) | instskip(NEXT) | instid1(VALU_DEP_1)
	v_cmp_eq_u32_e64 s0, 0, v3
	v_cndmask_b32_e64 v9, v4, v1, s0
; %bb.776:
	s_or_b32 exec_lo, exec_lo, s1
	v_mul_lo_u32 v0, v0, s17
	s_ashr_i32 s0, s14, 31
	v_add_co_u32 v3, s1, s14, v45
	s_delay_alu instid0(VALU_DEP_1) | instskip(SKIP_2) | instid1(VALU_DEP_4)
	v_add_co_ci_u32_e64 v4, null, s0, 0, s1
	v_and_b32_e32 v9, 0xffff0000, v9
	s_mov_b32 s1, 0
	v_ashrrev_i32_e32 v1, 31, v0
	s_delay_alu instid0(VALU_DEP_3) | instskip(NEXT) | instid1(VALU_DEP_2)
	v_lshlrev_b64 v[3:4], 1, v[3:4]
	v_lshlrev_b64 v[0:1], 1, v[0:1]
	s_delay_alu instid0(VALU_DEP_1) | instskip(NEXT) | instid1(VALU_DEP_1)
	v_add_co_u32 v0, s0, s2, v0
	v_add_co_ci_u32_e64 v1, s0, s3, v1, s0
	s_delay_alu instid0(VALU_DEP_2) | instskip(NEXT) | instid1(VALU_DEP_1)
	v_add_co_u32 v0, s0, v0, v3
	v_add_co_ci_u32_e64 v1, s0, v1, v4, s0
	v_and_b32_e32 v4, 0xffff0000, v2
	global_load_b32 v3, v[0:1], off offset:96
	s_branch .LBB12_778
.LBB12_777:                             ;   in Loop: Header=BB12_778 Depth=1
	s_or_b32 exec_lo, exec_lo, s5
	v_lshrrev_b32_e32 v2, 16, v2
	s_delay_alu instid0(VALU_DEP_1) | instskip(SKIP_4) | instid1(VALU_DEP_2)
	v_and_or_b32 v2, 0xffff0000, v13, v2
	global_atomic_cmpswap_b32 v2, v[0:1], v[2:3], off offset:96 glc
	s_waitcnt vmcnt(0)
	v_cmp_eq_u32_e64 s0, v2, v3
	v_mov_b32_e32 v3, v2
	s_or_b32 s1, s0, s1
	s_delay_alu instid0(SALU_CYCLE_1)
	s_and_not1_b32 exec_lo, exec_lo, s1
	s_cbranch_execz .LBB12_786
.LBB12_778:                             ; =>This Inner Loop Header: Depth=1
	s_waitcnt vmcnt(0)
	v_lshlrev_b32_e32 v2, 16, v3
	s_delay_alu instid0(VALU_DEP_1) | instskip(NEXT) | instid1(VALU_DEP_1)
	v_add_f32_e32 v10, v4, v2
	v_and_b32_e32 v2, 0x7f800000, v10
	s_delay_alu instid0(VALU_DEP_1) | instskip(NEXT) | instid1(VALU_DEP_1)
	v_cmp_ne_u32_e64 s0, 0x7f800000, v2
                                        ; implicit-def: $vgpr2
	s_and_saveexec_b32 s5, s0
	s_delay_alu instid0(SALU_CYCLE_1)
	s_xor_b32 s0, exec_lo, s5
; %bb.779:                              ;   in Loop: Header=BB12_778 Depth=1
	v_bfe_u32 v2, v10, 16, 1
	s_delay_alu instid0(VALU_DEP_1)
	v_add3_u32 v2, v10, v2, 0x7fff
                                        ; implicit-def: $vgpr10
; %bb.780:                              ;   in Loop: Header=BB12_778 Depth=1
	s_and_not1_saveexec_b32 s5, s0
; %bb.781:                              ;   in Loop: Header=BB12_778 Depth=1
	v_and_b32_e32 v2, 0xffff, v10
	v_or_b32_e32 v13, 0x10000, v10
	s_delay_alu instid0(VALU_DEP_2) | instskip(NEXT) | instid1(VALU_DEP_1)
	v_cmp_eq_u32_e64 s0, 0, v2
	v_cndmask_b32_e64 v2, v13, v10, s0
; %bb.782:                              ;   in Loop: Header=BB12_778 Depth=1
	s_or_b32 exec_lo, exec_lo, s5
	v_and_b32_e32 v10, 0xffff0000, v3
	s_delay_alu instid0(VALU_DEP_1) | instskip(NEXT) | instid1(VALU_DEP_1)
	v_add_f32_e32 v10, v9, v10
	v_and_b32_e32 v13, 0x7f800000, v10
	s_delay_alu instid0(VALU_DEP_1) | instskip(NEXT) | instid1(VALU_DEP_1)
	v_cmp_ne_u32_e64 s0, 0x7f800000, v13
                                        ; implicit-def: $vgpr13
	s_and_saveexec_b32 s5, s0
	s_delay_alu instid0(SALU_CYCLE_1)
	s_xor_b32 s0, exec_lo, s5
; %bb.783:                              ;   in Loop: Header=BB12_778 Depth=1
	v_bfe_u32 v13, v10, 16, 1
	s_delay_alu instid0(VALU_DEP_1)
	v_add3_u32 v13, v10, v13, 0x7fff
                                        ; implicit-def: $vgpr10
; %bb.784:                              ;   in Loop: Header=BB12_778 Depth=1
	s_and_not1_saveexec_b32 s5, s0
	s_cbranch_execz .LBB12_777
; %bb.785:                              ;   in Loop: Header=BB12_778 Depth=1
	v_and_b32_e32 v13, 0xffff, v10
	v_or_b32_e32 v14, 0x10000, v10
	s_delay_alu instid0(VALU_DEP_2) | instskip(NEXT) | instid1(VALU_DEP_1)
	v_cmp_eq_u32_e64 s0, 0, v13
	v_cndmask_b32_e64 v13, v14, v10, s0
	s_branch .LBB12_777
.LBB12_786:
	s_or_b32 exec_lo, exec_lo, s4
	s_waitcnt lgkmcnt(0)
	ds_bpermute_b32 v1, v12, v5
	s_and_saveexec_b32 s4, vcc_lo
	s_cbranch_execz .LBB12_806
; %bb.787:
	v_or3_b32 v0, v46, v47, 8
	v_cmp_gt_i32_e64 s1, s17, v11
	s_delay_alu instid0(VALU_DEP_2) | instskip(NEXT) | instid1(VALU_DEP_1)
	v_cmp_gt_i32_e64 s0, s16, v0
	s_and_b32 s0, s0, s1
	s_delay_alu instid0(SALU_CYCLE_1)
	s_and_b32 exec_lo, exec_lo, s0
	s_cbranch_execz .LBB12_806
; %bb.788:
	v_and_b32_e32 v2, 0x7f800000, v5
	s_delay_alu instid0(VALU_DEP_1) | instskip(NEXT) | instid1(VALU_DEP_1)
	v_cmp_ne_u32_e64 s0, 0x7f800000, v2
                                        ; implicit-def: $vgpr2
	s_and_saveexec_b32 s1, s0
	s_delay_alu instid0(SALU_CYCLE_1)
	s_xor_b32 s0, exec_lo, s1
; %bb.789:
	v_bfe_u32 v2, v5, 16, 1
	s_delay_alu instid0(VALU_DEP_1)
	v_add3_u32 v2, v5, v2, 0x7fff
; %bb.790:
	s_and_not1_saveexec_b32 s1, s0
; %bb.791:
	v_and_b32_e32 v2, 0xffff, v5
	v_or_b32_e32 v3, 0x10000, v5
	s_delay_alu instid0(VALU_DEP_2) | instskip(NEXT) | instid1(VALU_DEP_1)
	v_cmp_eq_u32_e64 s0, 0, v2
	v_cndmask_b32_e64 v2, v3, v5, s0
; %bb.792:
	s_or_b32 exec_lo, exec_lo, s1
	s_waitcnt lgkmcnt(0)
	v_and_b32_e32 v3, 0x7f800000, v1
                                        ; implicit-def: $vgpr5
	s_delay_alu instid0(VALU_DEP_1) | instskip(NEXT) | instid1(VALU_DEP_1)
	v_cmp_ne_u32_e64 s0, 0x7f800000, v3
	s_and_saveexec_b32 s1, s0
	s_delay_alu instid0(SALU_CYCLE_1)
	s_xor_b32 s0, exec_lo, s1
; %bb.793:
	v_bfe_u32 v3, v1, 16, 1
	s_delay_alu instid0(VALU_DEP_1)
	v_add3_u32 v5, v1, v3, 0x7fff
                                        ; implicit-def: $vgpr1
; %bb.794:
	s_and_not1_saveexec_b32 s1, s0
; %bb.795:
	v_and_b32_e32 v3, 0xffff, v1
	v_or_b32_e32 v4, 0x10000, v1
	s_delay_alu instid0(VALU_DEP_2) | instskip(NEXT) | instid1(VALU_DEP_1)
	v_cmp_eq_u32_e64 s0, 0, v3
	v_cndmask_b32_e64 v5, v4, v1, s0
; %bb.796:
	s_or_b32 exec_lo, exec_lo, s1
	v_mul_lo_u32 v0, v0, s17
	s_ashr_i32 s0, s14, 31
	v_add_co_u32 v3, s1, s14, v45
	s_delay_alu instid0(VALU_DEP_1) | instskip(SKIP_2) | instid1(VALU_DEP_4)
	v_add_co_ci_u32_e64 v4, null, s0, 0, s1
	v_and_b32_e32 v5, 0xffff0000, v5
	s_mov_b32 s1, 0
	v_ashrrev_i32_e32 v1, 31, v0
	s_delay_alu instid0(VALU_DEP_3) | instskip(NEXT) | instid1(VALU_DEP_2)
	v_lshlrev_b64 v[3:4], 1, v[3:4]
	v_lshlrev_b64 v[0:1], 1, v[0:1]
	s_delay_alu instid0(VALU_DEP_1) | instskip(NEXT) | instid1(VALU_DEP_1)
	v_add_co_u32 v0, s0, s2, v0
	v_add_co_ci_u32_e64 v1, s0, s3, v1, s0
	s_delay_alu instid0(VALU_DEP_2) | instskip(NEXT) | instid1(VALU_DEP_1)
	v_add_co_u32 v0, s0, v0, v3
	v_add_co_ci_u32_e64 v1, s0, v1, v4, s0
	v_and_b32_e32 v4, 0xffff0000, v2
	global_load_b32 v3, v[0:1], off offset:96
	s_branch .LBB12_798
.LBB12_797:                             ;   in Loop: Header=BB12_798 Depth=1
	s_or_b32 exec_lo, exec_lo, s5
	v_lshrrev_b32_e32 v2, 16, v2
	s_delay_alu instid0(VALU_DEP_1) | instskip(SKIP_4) | instid1(VALU_DEP_2)
	v_and_or_b32 v2, 0xffff0000, v10, v2
	global_atomic_cmpswap_b32 v2, v[0:1], v[2:3], off offset:96 glc
	s_waitcnt vmcnt(0)
	v_cmp_eq_u32_e64 s0, v2, v3
	v_mov_b32_e32 v3, v2
	s_or_b32 s1, s0, s1
	s_delay_alu instid0(SALU_CYCLE_1)
	s_and_not1_b32 exec_lo, exec_lo, s1
	s_cbranch_execz .LBB12_806
.LBB12_798:                             ; =>This Inner Loop Header: Depth=1
	s_waitcnt vmcnt(0)
	v_lshlrev_b32_e32 v2, 16, v3
	s_delay_alu instid0(VALU_DEP_1) | instskip(NEXT) | instid1(VALU_DEP_1)
	v_add_f32_e32 v9, v4, v2
	v_and_b32_e32 v2, 0x7f800000, v9
	s_delay_alu instid0(VALU_DEP_1) | instskip(NEXT) | instid1(VALU_DEP_1)
	v_cmp_ne_u32_e64 s0, 0x7f800000, v2
                                        ; implicit-def: $vgpr2
	s_and_saveexec_b32 s5, s0
	s_delay_alu instid0(SALU_CYCLE_1)
	s_xor_b32 s0, exec_lo, s5
; %bb.799:                              ;   in Loop: Header=BB12_798 Depth=1
	v_bfe_u32 v2, v9, 16, 1
	s_delay_alu instid0(VALU_DEP_1)
	v_add3_u32 v2, v9, v2, 0x7fff
                                        ; implicit-def: $vgpr9
; %bb.800:                              ;   in Loop: Header=BB12_798 Depth=1
	s_and_not1_saveexec_b32 s5, s0
; %bb.801:                              ;   in Loop: Header=BB12_798 Depth=1
	v_and_b32_e32 v2, 0xffff, v9
	v_or_b32_e32 v10, 0x10000, v9
	s_delay_alu instid0(VALU_DEP_2) | instskip(NEXT) | instid1(VALU_DEP_1)
	v_cmp_eq_u32_e64 s0, 0, v2
	v_cndmask_b32_e64 v2, v10, v9, s0
; %bb.802:                              ;   in Loop: Header=BB12_798 Depth=1
	s_or_b32 exec_lo, exec_lo, s5
	v_and_b32_e32 v9, 0xffff0000, v3
	s_delay_alu instid0(VALU_DEP_1) | instskip(NEXT) | instid1(VALU_DEP_1)
	v_add_f32_e32 v9, v5, v9
	v_and_b32_e32 v10, 0x7f800000, v9
	s_delay_alu instid0(VALU_DEP_1) | instskip(NEXT) | instid1(VALU_DEP_1)
	v_cmp_ne_u32_e64 s0, 0x7f800000, v10
                                        ; implicit-def: $vgpr10
	s_and_saveexec_b32 s5, s0
	s_delay_alu instid0(SALU_CYCLE_1)
	s_xor_b32 s0, exec_lo, s5
; %bb.803:                              ;   in Loop: Header=BB12_798 Depth=1
	v_bfe_u32 v10, v9, 16, 1
	s_delay_alu instid0(VALU_DEP_1)
	v_add3_u32 v10, v9, v10, 0x7fff
                                        ; implicit-def: $vgpr9
; %bb.804:                              ;   in Loop: Header=BB12_798 Depth=1
	s_and_not1_saveexec_b32 s5, s0
	s_cbranch_execz .LBB12_797
; %bb.805:                              ;   in Loop: Header=BB12_798 Depth=1
	v_and_b32_e32 v10, 0xffff, v9
	v_or_b32_e32 v13, 0x10000, v9
	s_delay_alu instid0(VALU_DEP_2) | instskip(NEXT) | instid1(VALU_DEP_1)
	v_cmp_eq_u32_e64 s0, 0, v10
	v_cndmask_b32_e64 v10, v13, v9, s0
	s_branch .LBB12_797
.LBB12_806:
	s_or_b32 exec_lo, exec_lo, s4
	s_waitcnt lgkmcnt(0)
	ds_bpermute_b32 v1, v12, v6
	s_and_saveexec_b32 s4, vcc_lo
	s_cbranch_execz .LBB12_826
; %bb.807:
	v_or3_b32 v0, v46, v47, 10
	v_cmp_gt_i32_e64 s1, s17, v11
	s_delay_alu instid0(VALU_DEP_2) | instskip(NEXT) | instid1(VALU_DEP_1)
	v_cmp_gt_i32_e64 s0, s16, v0
	s_and_b32 s0, s0, s1
	s_delay_alu instid0(SALU_CYCLE_1)
	s_and_b32 exec_lo, exec_lo, s0
	s_cbranch_execz .LBB12_826
; %bb.808:
	v_and_b32_e32 v2, 0x7f800000, v6
	s_delay_alu instid0(VALU_DEP_1) | instskip(NEXT) | instid1(VALU_DEP_1)
	v_cmp_ne_u32_e64 s0, 0x7f800000, v2
                                        ; implicit-def: $vgpr2
	s_and_saveexec_b32 s1, s0
	s_delay_alu instid0(SALU_CYCLE_1)
	s_xor_b32 s0, exec_lo, s1
; %bb.809:
	v_bfe_u32 v2, v6, 16, 1
	s_delay_alu instid0(VALU_DEP_1)
	v_add3_u32 v2, v6, v2, 0x7fff
; %bb.810:
	s_and_not1_saveexec_b32 s1, s0
; %bb.811:
	v_and_b32_e32 v2, 0xffff, v6
	v_or_b32_e32 v3, 0x10000, v6
	s_delay_alu instid0(VALU_DEP_2) | instskip(NEXT) | instid1(VALU_DEP_1)
	v_cmp_eq_u32_e64 s0, 0, v2
	v_cndmask_b32_e64 v2, v3, v6, s0
; %bb.812:
	s_or_b32 exec_lo, exec_lo, s1
	s_waitcnt lgkmcnt(0)
	v_and_b32_e32 v3, 0x7f800000, v1
                                        ; implicit-def: $vgpr5
	s_delay_alu instid0(VALU_DEP_1) | instskip(NEXT) | instid1(VALU_DEP_1)
	v_cmp_ne_u32_e64 s0, 0x7f800000, v3
	s_and_saveexec_b32 s1, s0
	s_delay_alu instid0(SALU_CYCLE_1)
	s_xor_b32 s0, exec_lo, s1
; %bb.813:
	v_bfe_u32 v3, v1, 16, 1
	s_delay_alu instid0(VALU_DEP_1)
	v_add3_u32 v5, v1, v3, 0x7fff
                                        ; implicit-def: $vgpr1
; %bb.814:
	s_and_not1_saveexec_b32 s1, s0
; %bb.815:
	v_and_b32_e32 v3, 0xffff, v1
	v_or_b32_e32 v4, 0x10000, v1
	s_delay_alu instid0(VALU_DEP_2) | instskip(NEXT) | instid1(VALU_DEP_1)
	v_cmp_eq_u32_e64 s0, 0, v3
	v_cndmask_b32_e64 v5, v4, v1, s0
; %bb.816:
	s_or_b32 exec_lo, exec_lo, s1
	v_mul_lo_u32 v0, v0, s17
	s_ashr_i32 s0, s14, 31
	v_add_co_u32 v3, s1, s14, v45
	s_delay_alu instid0(VALU_DEP_1) | instskip(SKIP_2) | instid1(VALU_DEP_4)
	v_add_co_ci_u32_e64 v4, null, s0, 0, s1
	v_and_b32_e32 v5, 0xffff0000, v5
	s_mov_b32 s1, 0
	v_ashrrev_i32_e32 v1, 31, v0
	s_delay_alu instid0(VALU_DEP_3) | instskip(NEXT) | instid1(VALU_DEP_2)
	v_lshlrev_b64 v[3:4], 1, v[3:4]
	v_lshlrev_b64 v[0:1], 1, v[0:1]
	s_delay_alu instid0(VALU_DEP_1) | instskip(NEXT) | instid1(VALU_DEP_1)
	v_add_co_u32 v0, s0, s2, v0
	v_add_co_ci_u32_e64 v1, s0, s3, v1, s0
	s_delay_alu instid0(VALU_DEP_2) | instskip(NEXT) | instid1(VALU_DEP_1)
	v_add_co_u32 v0, s0, v0, v3
	v_add_co_ci_u32_e64 v1, s0, v1, v4, s0
	v_and_b32_e32 v4, 0xffff0000, v2
	global_load_b32 v3, v[0:1], off offset:96
	s_branch .LBB12_818
.LBB12_817:                             ;   in Loop: Header=BB12_818 Depth=1
	s_or_b32 exec_lo, exec_lo, s5
	v_lshrrev_b32_e32 v2, 16, v2
	s_delay_alu instid0(VALU_DEP_1) | instskip(SKIP_4) | instid1(VALU_DEP_2)
	v_and_or_b32 v2, 0xffff0000, v9, v2
	global_atomic_cmpswap_b32 v2, v[0:1], v[2:3], off offset:96 glc
	s_waitcnt vmcnt(0)
	v_cmp_eq_u32_e64 s0, v2, v3
	v_mov_b32_e32 v3, v2
	s_or_b32 s1, s0, s1
	s_delay_alu instid0(SALU_CYCLE_1)
	s_and_not1_b32 exec_lo, exec_lo, s1
	s_cbranch_execz .LBB12_826
.LBB12_818:                             ; =>This Inner Loop Header: Depth=1
	s_waitcnt vmcnt(0)
	v_lshlrev_b32_e32 v2, 16, v3
	s_delay_alu instid0(VALU_DEP_1) | instskip(NEXT) | instid1(VALU_DEP_1)
	v_add_f32_e32 v6, v4, v2
	v_and_b32_e32 v2, 0x7f800000, v6
	s_delay_alu instid0(VALU_DEP_1) | instskip(NEXT) | instid1(VALU_DEP_1)
	v_cmp_ne_u32_e64 s0, 0x7f800000, v2
                                        ; implicit-def: $vgpr2
	s_and_saveexec_b32 s5, s0
	s_delay_alu instid0(SALU_CYCLE_1)
	s_xor_b32 s0, exec_lo, s5
; %bb.819:                              ;   in Loop: Header=BB12_818 Depth=1
	v_bfe_u32 v2, v6, 16, 1
	s_delay_alu instid0(VALU_DEP_1)
	v_add3_u32 v2, v6, v2, 0x7fff
                                        ; implicit-def: $vgpr6
; %bb.820:                              ;   in Loop: Header=BB12_818 Depth=1
	s_and_not1_saveexec_b32 s5, s0
; %bb.821:                              ;   in Loop: Header=BB12_818 Depth=1
	v_and_b32_e32 v2, 0xffff, v6
	v_or_b32_e32 v9, 0x10000, v6
	s_delay_alu instid0(VALU_DEP_2) | instskip(NEXT) | instid1(VALU_DEP_1)
	v_cmp_eq_u32_e64 s0, 0, v2
	v_cndmask_b32_e64 v2, v9, v6, s0
; %bb.822:                              ;   in Loop: Header=BB12_818 Depth=1
	s_or_b32 exec_lo, exec_lo, s5
	v_and_b32_e32 v6, 0xffff0000, v3
	s_delay_alu instid0(VALU_DEP_1) | instskip(NEXT) | instid1(VALU_DEP_1)
	v_add_f32_e32 v6, v5, v6
	v_and_b32_e32 v9, 0x7f800000, v6
	s_delay_alu instid0(VALU_DEP_1) | instskip(NEXT) | instid1(VALU_DEP_1)
	v_cmp_ne_u32_e64 s0, 0x7f800000, v9
                                        ; implicit-def: $vgpr9
	s_and_saveexec_b32 s5, s0
	s_delay_alu instid0(SALU_CYCLE_1)
	s_xor_b32 s0, exec_lo, s5
; %bb.823:                              ;   in Loop: Header=BB12_818 Depth=1
	v_bfe_u32 v9, v6, 16, 1
	s_delay_alu instid0(VALU_DEP_1)
	v_add3_u32 v9, v6, v9, 0x7fff
                                        ; implicit-def: $vgpr6
; %bb.824:                              ;   in Loop: Header=BB12_818 Depth=1
	s_and_not1_saveexec_b32 s5, s0
	s_cbranch_execz .LBB12_817
; %bb.825:                              ;   in Loop: Header=BB12_818 Depth=1
	v_and_b32_e32 v9, 0xffff, v6
	v_or_b32_e32 v10, 0x10000, v6
	s_delay_alu instid0(VALU_DEP_2) | instskip(NEXT) | instid1(VALU_DEP_1)
	v_cmp_eq_u32_e64 s0, 0, v9
	v_cndmask_b32_e64 v9, v10, v6, s0
	s_branch .LBB12_817
.LBB12_826:
	s_or_b32 exec_lo, exec_lo, s4
	s_waitcnt lgkmcnt(0)
	ds_bpermute_b32 v1, v12, v7
	s_and_saveexec_b32 s4, vcc_lo
	s_cbranch_execz .LBB12_846
; %bb.827:
	v_or3_b32 v0, v46, v47, 12
	v_cmp_gt_i32_e64 s1, s17, v11
	s_delay_alu instid0(VALU_DEP_2) | instskip(NEXT) | instid1(VALU_DEP_1)
	v_cmp_gt_i32_e64 s0, s16, v0
	s_and_b32 s0, s0, s1
	s_delay_alu instid0(SALU_CYCLE_1)
	s_and_b32 exec_lo, exec_lo, s0
	s_cbranch_execz .LBB12_846
; %bb.828:
	v_and_b32_e32 v2, 0x7f800000, v7
	s_delay_alu instid0(VALU_DEP_1) | instskip(NEXT) | instid1(VALU_DEP_1)
	v_cmp_ne_u32_e64 s0, 0x7f800000, v2
                                        ; implicit-def: $vgpr2
	s_and_saveexec_b32 s1, s0
	s_delay_alu instid0(SALU_CYCLE_1)
	s_xor_b32 s0, exec_lo, s1
; %bb.829:
	v_bfe_u32 v2, v7, 16, 1
	s_delay_alu instid0(VALU_DEP_1)
	v_add3_u32 v2, v7, v2, 0x7fff
; %bb.830:
	s_and_not1_saveexec_b32 s1, s0
; %bb.831:
	v_and_b32_e32 v2, 0xffff, v7
	v_or_b32_e32 v3, 0x10000, v7
	s_delay_alu instid0(VALU_DEP_2) | instskip(NEXT) | instid1(VALU_DEP_1)
	v_cmp_eq_u32_e64 s0, 0, v2
	v_cndmask_b32_e64 v2, v3, v7, s0
; %bb.832:
	s_or_b32 exec_lo, exec_lo, s1
	s_waitcnt lgkmcnt(0)
	v_and_b32_e32 v3, 0x7f800000, v1
                                        ; implicit-def: $vgpr5
	s_delay_alu instid0(VALU_DEP_1) | instskip(NEXT) | instid1(VALU_DEP_1)
	v_cmp_ne_u32_e64 s0, 0x7f800000, v3
	s_and_saveexec_b32 s1, s0
	s_delay_alu instid0(SALU_CYCLE_1)
	s_xor_b32 s0, exec_lo, s1
; %bb.833:
	v_bfe_u32 v3, v1, 16, 1
	s_delay_alu instid0(VALU_DEP_1)
	v_add3_u32 v5, v1, v3, 0x7fff
                                        ; implicit-def: $vgpr1
; %bb.834:
	s_and_not1_saveexec_b32 s1, s0
; %bb.835:
	v_and_b32_e32 v3, 0xffff, v1
	v_or_b32_e32 v4, 0x10000, v1
	s_delay_alu instid0(VALU_DEP_2) | instskip(NEXT) | instid1(VALU_DEP_1)
	v_cmp_eq_u32_e64 s0, 0, v3
	v_cndmask_b32_e64 v5, v4, v1, s0
; %bb.836:
	s_or_b32 exec_lo, exec_lo, s1
	v_mul_lo_u32 v0, v0, s17
	s_ashr_i32 s0, s14, 31
	v_add_co_u32 v3, s1, s14, v45
	s_delay_alu instid0(VALU_DEP_1) | instskip(SKIP_2) | instid1(VALU_DEP_4)
	v_add_co_ci_u32_e64 v4, null, s0, 0, s1
	v_and_b32_e32 v5, 0xffff0000, v5
	s_mov_b32 s1, 0
	v_ashrrev_i32_e32 v1, 31, v0
	s_delay_alu instid0(VALU_DEP_3) | instskip(NEXT) | instid1(VALU_DEP_2)
	v_lshlrev_b64 v[3:4], 1, v[3:4]
	v_lshlrev_b64 v[0:1], 1, v[0:1]
	s_delay_alu instid0(VALU_DEP_1) | instskip(NEXT) | instid1(VALU_DEP_1)
	v_add_co_u32 v0, s0, s2, v0
	v_add_co_ci_u32_e64 v1, s0, s3, v1, s0
	s_delay_alu instid0(VALU_DEP_2) | instskip(NEXT) | instid1(VALU_DEP_1)
	v_add_co_u32 v0, s0, v0, v3
	v_add_co_ci_u32_e64 v1, s0, v1, v4, s0
	v_and_b32_e32 v4, 0xffff0000, v2
	global_load_b32 v3, v[0:1], off offset:96
	s_branch .LBB12_838
.LBB12_837:                             ;   in Loop: Header=BB12_838 Depth=1
	s_or_b32 exec_lo, exec_lo, s5
	v_lshrrev_b32_e32 v2, 16, v2
	s_delay_alu instid0(VALU_DEP_1) | instskip(SKIP_4) | instid1(VALU_DEP_2)
	v_and_or_b32 v2, 0xffff0000, v7, v2
	global_atomic_cmpswap_b32 v2, v[0:1], v[2:3], off offset:96 glc
	s_waitcnt vmcnt(0)
	v_cmp_eq_u32_e64 s0, v2, v3
	v_mov_b32_e32 v3, v2
	s_or_b32 s1, s0, s1
	s_delay_alu instid0(SALU_CYCLE_1)
	s_and_not1_b32 exec_lo, exec_lo, s1
	s_cbranch_execz .LBB12_846
.LBB12_838:                             ; =>This Inner Loop Header: Depth=1
	s_waitcnt vmcnt(0)
	v_lshlrev_b32_e32 v2, 16, v3
	s_delay_alu instid0(VALU_DEP_1) | instskip(NEXT) | instid1(VALU_DEP_1)
	v_add_f32_e32 v6, v4, v2
	v_and_b32_e32 v2, 0x7f800000, v6
	s_delay_alu instid0(VALU_DEP_1) | instskip(NEXT) | instid1(VALU_DEP_1)
	v_cmp_ne_u32_e64 s0, 0x7f800000, v2
                                        ; implicit-def: $vgpr2
	s_and_saveexec_b32 s5, s0
	s_delay_alu instid0(SALU_CYCLE_1)
	s_xor_b32 s0, exec_lo, s5
; %bb.839:                              ;   in Loop: Header=BB12_838 Depth=1
	v_bfe_u32 v2, v6, 16, 1
	s_delay_alu instid0(VALU_DEP_1)
	v_add3_u32 v2, v6, v2, 0x7fff
                                        ; implicit-def: $vgpr6
; %bb.840:                              ;   in Loop: Header=BB12_838 Depth=1
	s_and_not1_saveexec_b32 s5, s0
; %bb.841:                              ;   in Loop: Header=BB12_838 Depth=1
	v_and_b32_e32 v2, 0xffff, v6
	v_or_b32_e32 v7, 0x10000, v6
	s_delay_alu instid0(VALU_DEP_2) | instskip(NEXT) | instid1(VALU_DEP_1)
	v_cmp_eq_u32_e64 s0, 0, v2
	v_cndmask_b32_e64 v2, v7, v6, s0
; %bb.842:                              ;   in Loop: Header=BB12_838 Depth=1
	s_or_b32 exec_lo, exec_lo, s5
	v_and_b32_e32 v6, 0xffff0000, v3
	s_delay_alu instid0(VALU_DEP_1) | instskip(NEXT) | instid1(VALU_DEP_1)
	v_add_f32_e32 v6, v5, v6
	v_and_b32_e32 v7, 0x7f800000, v6
	s_delay_alu instid0(VALU_DEP_1) | instskip(NEXT) | instid1(VALU_DEP_1)
	v_cmp_ne_u32_e64 s0, 0x7f800000, v7
                                        ; implicit-def: $vgpr7
	s_and_saveexec_b32 s5, s0
	s_delay_alu instid0(SALU_CYCLE_1)
	s_xor_b32 s0, exec_lo, s5
; %bb.843:                              ;   in Loop: Header=BB12_838 Depth=1
	v_bfe_u32 v7, v6, 16, 1
	s_delay_alu instid0(VALU_DEP_1)
	v_add3_u32 v7, v6, v7, 0x7fff
                                        ; implicit-def: $vgpr6
; %bb.844:                              ;   in Loop: Header=BB12_838 Depth=1
	s_and_not1_saveexec_b32 s5, s0
	s_cbranch_execz .LBB12_837
; %bb.845:                              ;   in Loop: Header=BB12_838 Depth=1
	v_and_b32_e32 v7, 0xffff, v6
	v_or_b32_e32 v9, 0x10000, v6
	s_delay_alu instid0(VALU_DEP_2) | instskip(NEXT) | instid1(VALU_DEP_1)
	v_cmp_eq_u32_e64 s0, 0, v7
	v_cndmask_b32_e64 v7, v9, v6, s0
	s_branch .LBB12_837
.LBB12_846:
	s_or_b32 exec_lo, exec_lo, s4
	ds_bpermute_b32 v10, v12, v8
	s_and_saveexec_b32 s0, vcc_lo
	s_cbranch_execz .LBB12_866
; %bb.847:
	v_or3_b32 v0, v46, v47, 14
	v_cmp_gt_i32_e64 s0, s17, v11
	s_delay_alu instid0(VALU_DEP_2) | instskip(NEXT) | instid1(VALU_DEP_2)
	v_cmp_gt_i32_e32 vcc_lo, s16, v0
	s_and_b32 s0, vcc_lo, s0
	s_delay_alu instid0(SALU_CYCLE_1)
	s_and_b32 exec_lo, exec_lo, s0
	s_cbranch_execz .LBB12_866
; %bb.848:
	s_waitcnt lgkmcnt(1)
	v_and_b32_e32 v1, 0x7f800000, v8
	s_mov_b32 s0, exec_lo
                                        ; implicit-def: $vgpr9
	s_delay_alu instid0(VALU_DEP_1)
	v_cmpx_ne_u32_e32 0x7f800000, v1
	s_xor_b32 s0, exec_lo, s0
; %bb.849:
	v_bfe_u32 v1, v8, 16, 1
	s_delay_alu instid0(VALU_DEP_1)
	v_add3_u32 v9, v8, v1, 0x7fff
                                        ; implicit-def: $vgpr1_vgpr2_vgpr3_vgpr4_vgpr5_vgpr6_vgpr7_vgpr8
; %bb.850:
	s_and_not1_saveexec_b32 s0, s0
; %bb.851:
	v_and_b32_e32 v1, 0xffff, v8
	v_or_b32_e32 v2, 0x10000, v8
	s_delay_alu instid0(VALU_DEP_2) | instskip(NEXT) | instid1(VALU_DEP_2)
	v_cmp_eq_u32_e32 vcc_lo, 0, v1
	v_cndmask_b32_e32 v9, v2, v8, vcc_lo
; %bb.852:
	s_or_b32 exec_lo, exec_lo, s0
	s_waitcnt lgkmcnt(0)
	v_and_b32_e32 v1, 0x7f800000, v10
	s_mov_b32 s0, exec_lo
                                        ; implicit-def: $vgpr2
	s_delay_alu instid0(VALU_DEP_1)
	v_cmpx_ne_u32_e32 0x7f800000, v1
	s_xor_b32 s0, exec_lo, s0
; %bb.853:
	v_bfe_u32 v1, v10, 16, 1
	s_delay_alu instid0(VALU_DEP_1)
	v_add3_u32 v2, v10, v1, 0x7fff
                                        ; implicit-def: $vgpr10
; %bb.854:
	s_and_not1_saveexec_b32 s0, s0
; %bb.855:
	v_and_b32_e32 v1, 0xffff, v10
	v_or_b32_e32 v2, 0x10000, v10
	s_delay_alu instid0(VALU_DEP_2) | instskip(NEXT) | instid1(VALU_DEP_2)
	v_cmp_eq_u32_e32 vcc_lo, 0, v1
	v_cndmask_b32_e32 v2, v2, v10, vcc_lo
; %bb.856:
	s_or_b32 exec_lo, exec_lo, s0
	v_mul_lo_u32 v0, v0, s17
	s_ashr_i32 s0, s14, 31
	v_add_co_u32 v3, s1, s14, v45
	s_delay_alu instid0(VALU_DEP_1) | instskip(SKIP_2) | instid1(VALU_DEP_4)
	v_add_co_ci_u32_e64 v4, null, s0, 0, s1
	v_and_b32_e32 v5, 0xffff0000, v2
	s_mov_b32 s0, 0
	v_ashrrev_i32_e32 v1, 31, v0
	s_delay_alu instid0(VALU_DEP_3) | instskip(NEXT) | instid1(VALU_DEP_2)
	v_lshlrev_b64 v[3:4], 1, v[3:4]
	v_lshlrev_b64 v[0:1], 1, v[0:1]
	s_delay_alu instid0(VALU_DEP_1) | instskip(NEXT) | instid1(VALU_DEP_2)
	v_add_co_u32 v0, vcc_lo, s2, v0
	v_add_co_ci_u32_e32 v1, vcc_lo, s3, v1, vcc_lo
	s_delay_alu instid0(VALU_DEP_2) | instskip(NEXT) | instid1(VALU_DEP_2)
	v_add_co_u32 v0, vcc_lo, v0, v3
	v_add_co_ci_u32_e32 v1, vcc_lo, v1, v4, vcc_lo
	v_and_b32_e32 v4, 0xffff0000, v9
	global_load_b32 v3, v[0:1], off offset:96
	s_branch .LBB12_858
.LBB12_857:                             ;   in Loop: Header=BB12_858 Depth=1
	s_or_b32 exec_lo, exec_lo, s1
	v_lshrrev_b32_e32 v2, 16, v2
	s_delay_alu instid0(VALU_DEP_1)
	v_and_or_b32 v2, 0xffff0000, v7, v2
	global_atomic_cmpswap_b32 v2, v[0:1], v[2:3], off offset:96 glc
	s_waitcnt vmcnt(0)
	v_cmp_eq_u32_e32 vcc_lo, v2, v3
	v_mov_b32_e32 v3, v2
	s_or_b32 s0, vcc_lo, s0
	s_delay_alu instid0(SALU_CYCLE_1)
	s_and_not1_b32 exec_lo, exec_lo, s0
	s_cbranch_execz .LBB12_866
.LBB12_858:                             ; =>This Inner Loop Header: Depth=1
	s_waitcnt vmcnt(0)
	v_lshlrev_b32_e32 v2, 16, v3
	s_delay_alu instid0(VALU_DEP_1) | instskip(NEXT) | instid1(VALU_DEP_1)
	v_add_f32_e32 v6, v4, v2
	v_and_b32_e32 v2, 0x7f800000, v6
	s_delay_alu instid0(VALU_DEP_1) | instskip(SKIP_1) | instid1(SALU_CYCLE_1)
	v_cmp_ne_u32_e32 vcc_lo, 0x7f800000, v2
                                        ; implicit-def: $vgpr2
	s_and_saveexec_b32 s1, vcc_lo
	s_xor_b32 s1, exec_lo, s1
; %bb.859:                              ;   in Loop: Header=BB12_858 Depth=1
	v_bfe_u32 v2, v6, 16, 1
	s_delay_alu instid0(VALU_DEP_1)
	v_add3_u32 v2, v6, v2, 0x7fff
                                        ; implicit-def: $vgpr6
; %bb.860:                              ;   in Loop: Header=BB12_858 Depth=1
	s_and_not1_saveexec_b32 s1, s1
; %bb.861:                              ;   in Loop: Header=BB12_858 Depth=1
	v_and_b32_e32 v2, 0xffff, v6
	v_or_b32_e32 v7, 0x10000, v6
	s_delay_alu instid0(VALU_DEP_2) | instskip(NEXT) | instid1(VALU_DEP_2)
	v_cmp_eq_u32_e32 vcc_lo, 0, v2
	v_cndmask_b32_e32 v2, v7, v6, vcc_lo
; %bb.862:                              ;   in Loop: Header=BB12_858 Depth=1
	s_or_b32 exec_lo, exec_lo, s1
	v_and_b32_e32 v6, 0xffff0000, v3
	s_delay_alu instid0(VALU_DEP_1) | instskip(NEXT) | instid1(VALU_DEP_1)
	v_add_f32_e32 v6, v5, v6
	v_and_b32_e32 v7, 0x7f800000, v6
	s_delay_alu instid0(VALU_DEP_1) | instskip(SKIP_1) | instid1(SALU_CYCLE_1)
	v_cmp_ne_u32_e32 vcc_lo, 0x7f800000, v7
                                        ; implicit-def: $vgpr7
	s_and_saveexec_b32 s1, vcc_lo
	s_xor_b32 s1, exec_lo, s1
; %bb.863:                              ;   in Loop: Header=BB12_858 Depth=1
	v_bfe_u32 v7, v6, 16, 1
	s_delay_alu instid0(VALU_DEP_1)
	v_add3_u32 v7, v6, v7, 0x7fff
                                        ; implicit-def: $vgpr6
; %bb.864:                              ;   in Loop: Header=BB12_858 Depth=1
	s_and_not1_saveexec_b32 s1, s1
	s_cbranch_execz .LBB12_857
; %bb.865:                              ;   in Loop: Header=BB12_858 Depth=1
	v_and_b32_e32 v7, 0xffff, v6
	v_or_b32_e32 v8, 0x10000, v6
	s_delay_alu instid0(VALU_DEP_2) | instskip(NEXT) | instid1(VALU_DEP_2)
	v_cmp_eq_u32_e32 vcc_lo, 0, v7
	v_cndmask_b32_e32 v7, v8, v6, vcc_lo
	s_branch .LBB12_857
.LBB12_866:
	s_nop 0
	s_sendmsg sendmsg(MSG_DEALLOC_VGPRS)
	s_endpgm
	.section	.rodata,"a",@progbits
	.p2align	6, 0x0
	.amdhsa_kernel _ZN4vllm15gptq_rdna3_wmma30gemm_q4_wmma_kernel_128x64_k16I14__hip_bfloat16EEvPKT_PKjS7_S5_PS3_iiiiiPKi
		.amdhsa_group_segment_fixed_size 4096
		.amdhsa_private_segment_fixed_size 0
		.amdhsa_kernarg_size 328
		.amdhsa_user_sgpr_count 13
		.amdhsa_user_sgpr_dispatch_ptr 0
		.amdhsa_user_sgpr_queue_ptr 0
		.amdhsa_user_sgpr_kernarg_segment_ptr 1
		.amdhsa_user_sgpr_dispatch_id 0
		.amdhsa_user_sgpr_private_segment_size 0
		.amdhsa_wavefront_size32 1
		.amdhsa_uses_dynamic_stack 0
		.amdhsa_enable_private_segment 0
		.amdhsa_system_sgpr_workgroup_id_x 1
		.amdhsa_system_sgpr_workgroup_id_y 1
		.amdhsa_system_sgpr_workgroup_id_z 1
		.amdhsa_system_sgpr_workgroup_info 0
		.amdhsa_system_vgpr_workitem_id 0
		.amdhsa_next_free_vgpr 86
		.amdhsa_next_free_sgpr 29
		.amdhsa_reserve_vcc 1
		.amdhsa_float_round_mode_32 0
		.amdhsa_float_round_mode_16_64 0
		.amdhsa_float_denorm_mode_32 3
		.amdhsa_float_denorm_mode_16_64 3
		.amdhsa_dx10_clamp 1
		.amdhsa_ieee_mode 1
		.amdhsa_fp16_overflow 0
		.amdhsa_workgroup_processor_mode 1
		.amdhsa_memory_ordered 1
		.amdhsa_forward_progress 0
		.amdhsa_shared_vgpr_count 0
		.amdhsa_exception_fp_ieee_invalid_op 0
		.amdhsa_exception_fp_denorm_src 0
		.amdhsa_exception_fp_ieee_div_zero 0
		.amdhsa_exception_fp_ieee_overflow 0
		.amdhsa_exception_fp_ieee_underflow 0
		.amdhsa_exception_fp_ieee_inexact 0
		.amdhsa_exception_int_div_zero 0
	.end_amdhsa_kernel
	.section	.text._ZN4vllm15gptq_rdna3_wmma30gemm_q4_wmma_kernel_128x64_k16I14__hip_bfloat16EEvPKT_PKjS7_S5_PS3_iiiiiPKi,"axG",@progbits,_ZN4vllm15gptq_rdna3_wmma30gemm_q4_wmma_kernel_128x64_k16I14__hip_bfloat16EEvPKT_PKjS7_S5_PS3_iiiiiPKi,comdat
.Lfunc_end12:
	.size	_ZN4vllm15gptq_rdna3_wmma30gemm_q4_wmma_kernel_128x64_k16I14__hip_bfloat16EEvPKT_PKjS7_S5_PS3_iiiiiPKi, .Lfunc_end12-_ZN4vllm15gptq_rdna3_wmma30gemm_q4_wmma_kernel_128x64_k16I14__hip_bfloat16EEvPKT_PKjS7_S5_PS3_iiiiiPKi
                                        ; -- End function
	.section	.AMDGPU.csdata,"",@progbits
; Kernel info:
; codeLenInByte = 32344
; NumSgprs: 31
; NumVgprs: 86
; ScratchSize: 0
; MemoryBound: 1
; FloatMode: 240
; IeeeMode: 1
; LDSByteSize: 4096 bytes/workgroup (compile time only)
; SGPRBlocks: 3
; VGPRBlocks: 10
; NumSGPRsForWavesPerEU: 31
; NumVGPRsForWavesPerEU: 86
; Occupancy: 16
; WaveLimiterHint : 0
; COMPUTE_PGM_RSRC2:SCRATCH_EN: 0
; COMPUTE_PGM_RSRC2:USER_SGPR: 13
; COMPUTE_PGM_RSRC2:TRAP_HANDLER: 0
; COMPUTE_PGM_RSRC2:TGID_X_EN: 1
; COMPUTE_PGM_RSRC2:TGID_Y_EN: 1
; COMPUTE_PGM_RSRC2:TGID_Z_EN: 1
; COMPUTE_PGM_RSRC2:TIDIG_COMP_CNT: 0
	.section	.text._ZN4vllm15gptq_rdna3_wmma28gemm_q4_wmma_kernel_64x64_4wI14__hip_bfloat16EEvPKT_PKjS7_S5_PS3_iiiiiPKi,"axG",@progbits,_ZN4vllm15gptq_rdna3_wmma28gemm_q4_wmma_kernel_64x64_4wI14__hip_bfloat16EEvPKT_PKjS7_S5_PS3_iiiiiPKi,comdat
	.protected	_ZN4vllm15gptq_rdna3_wmma28gemm_q4_wmma_kernel_64x64_4wI14__hip_bfloat16EEvPKT_PKjS7_S5_PS3_iiiiiPKi ; -- Begin function _ZN4vllm15gptq_rdna3_wmma28gemm_q4_wmma_kernel_64x64_4wI14__hip_bfloat16EEvPKT_PKjS7_S5_PS3_iiiiiPKi
	.globl	_ZN4vllm15gptq_rdna3_wmma28gemm_q4_wmma_kernel_64x64_4wI14__hip_bfloat16EEvPKT_PKjS7_S5_PS3_iiiiiPKi
	.p2align	8
	.type	_ZN4vllm15gptq_rdna3_wmma28gemm_q4_wmma_kernel_64x64_4wI14__hip_bfloat16EEvPKT_PKjS7_S5_PS3_iiiiiPKi,@function
_ZN4vllm15gptq_rdna3_wmma28gemm_q4_wmma_kernel_64x64_4wI14__hip_bfloat16EEvPKT_PKjS7_S5_PS3_iiiiiPKi: ; @_ZN4vllm15gptq_rdna3_wmma28gemm_q4_wmma_kernel_64x64_4wI14__hip_bfloat16EEvPKT_PKjS7_S5_PS3_iiiiiPKi
; %bb.0:
	s_load_b128 s[20:23], s[0:1], 0x28
	s_lshl_b32 s6, s14, 6
	s_lshl_b32 s3, s13, 6
	s_waitcnt lgkmcnt(0)
	s_cmp_ge_i32 s6, s20
	s_cselect_b32 s2, -1, 0
	s_cmp_ge_i32 s3, s21
	s_cselect_b32 s4, -1, 0
	s_delay_alu instid0(SALU_CYCLE_1) | instskip(NEXT) | instid1(SALU_CYCLE_1)
	s_or_b32 s2, s2, s4
	s_and_b32 vcc_lo, exec_lo, s2
	s_cbranch_vccnz .LBB13_869
; %bb.1:
	s_load_b32 s33, s[0:1], 0x50
	s_abs_i32 s2, s23
	s_xor_b32 s5, s22, s23
	s_load_b32 s23, s[0:1], 0x38
	v_cvt_f32_u32_e32 v1, s2
	s_sub_i32 s7, 0, s2
	s_abs_i32 s8, s22
	s_ashr_i32 s5, s5, 31
	v_and_b32_e32 v45, 15, v0
	v_rcp_iflag_f32_e32 v1, v1
	s_clause 0x1
	s_load_b128 s[24:27], s[0:1], 0x8
	s_load_b64 s[30:31], s[0:1], 0x18
	v_bfe_u32 v46, v0, 4, 1
	v_lshlrev_b32_e32 v33, 2, v0
	s_waitcnt lgkmcnt(0)
	v_cvt_f32_u32_e32 v2, s33
	s_delay_alu instid0(VALU_DEP_1) | instskip(SKIP_2) | instid1(VALU_DEP_1)
	v_rcp_iflag_f32_e32 v2, v2
	s_waitcnt_depctr 0xfff
	v_dual_mul_f32 v1, 0x4f7ffffe, v1 :: v_dual_mul_f32 v2, 0x4f7ffffe, v2
	v_cvt_u32_f32_e32 v1, v1
	s_delay_alu instid0(VALU_DEP_2) | instskip(NEXT) | instid1(VALU_DEP_2)
	v_cvt_u32_f32_e32 v2, v2
	v_readfirstlane_b32 s4, v1
	v_lshrrev_b32_e32 v1, 1, v0
	s_delay_alu instid0(VALU_DEP_3) | instskip(NEXT) | instid1(VALU_DEP_3)
	v_readfirstlane_b32 s10, v2
	s_mul_i32 s7, s7, s4
	s_delay_alu instid0(VALU_DEP_2) | instskip(SKIP_1) | instid1(SALU_CYCLE_1)
	v_and_b32_e32 v1, 0x1f0, v1
	s_mul_hi_u32 s7, s4, s7
	s_add_i32 s4, s4, s7
	s_delay_alu instid0(SALU_CYCLE_1) | instskip(NEXT) | instid1(VALU_DEP_1)
	s_mul_hi_u32 s4, s8, s4
	v_or_b32_e32 v47, v1, v45
	s_mul_i32 s7, s4, s2
	s_delay_alu instid0(SALU_CYCLE_1)
	s_sub_i32 s7, s8, s7
	s_add_i32 s8, s4, 1
	s_sub_i32 s9, s7, s2
	s_cmp_ge_u32 s7, s2
	v_add_nc_u32_e32 v41, s3, v47
	s_cselect_b32 s4, s8, s4
	s_cselect_b32 s7, s9, s7
	s_add_i32 s8, s4, 1
	s_cmp_ge_u32 s7, s2
	v_ashrrev_i32_e32 v34, 31, v41
	s_cselect_b32 s4, s8, s4
	s_sub_i32 s2, 0, s33
	s_xor_b32 s4, s4, s5
	s_mul_i32 s2, s2, s10
	s_sub_i32 s5, s4, s5
	s_mul_hi_u32 s2, s10, s2
	s_delay_alu instid0(SALU_CYCLE_1) | instskip(SKIP_2) | instid1(SALU_CYCLE_1)
	s_add_i32 s10, s10, s2
	v_cmp_le_i32_e64 s2, s21, v41
	s_mul_hi_u32 s7, s22, s10
	s_mul_i32 s8, s7, s33
	s_delay_alu instid0(SALU_CYCLE_1)
	s_sub_i32 s4, s22, s8
	s_add_i32 s8, s7, 1
	s_sub_i32 s9, s4, s33
	s_cmp_ge_u32 s4, s33
	s_cselect_b32 s7, s8, s7
	s_cselect_b32 s4, s9, s4
	s_add_i32 s8, s7, 1
	s_cmp_ge_u32 s4, s33
	s_cselect_b32 s10, s8, s7
	s_mov_b32 s7, exec_lo
	s_mul_i32 s4, s10, s15
	v_cmpx_gt_i32_e64 s21, v41
	s_cbranch_execz .LBB13_3
; %bb.2:
	s_abs_i32 s8, s5
	s_abs_i32 s14, s4
	v_cvt_f32_u32_e32 v2, s8
	s_sub_i32 s13, 0, s8
	s_ashr_i32 s11, s4, 31
	s_xor_b32 s12, s4, s5
	s_lshr_b32 s11, s11, 29
	v_rcp_iflag_f32_e32 v2, v2
	s_add_i32 s11, s4, s11
	s_ashr_i32 s12, s12, 31
	s_ashr_i32 s11, s11, 3
	s_delay_alu instid0(SALU_CYCLE_1) | instskip(NEXT) | instid1(VALU_DEP_1)
	v_add_nc_u32_e32 v7, s11, v46
	v_mad_u64_u32 v[5:6], null, v7, s21, v[41:42]
	s_waitcnt_depctr 0xfff
	v_mul_f32_e32 v2, 0x4f7ffffe, v2
	s_delay_alu instid0(VALU_DEP_1) | instskip(SKIP_1) | instid1(VALU_DEP_2)
	v_cvt_u32_f32_e32 v2, v2
	v_ashrrev_i32_e32 v6, 31, v5
	v_readfirstlane_b32 s9, v2
	v_lshrrev_b32_e32 v2, 29, v34
	s_delay_alu instid0(VALU_DEP_2) | instskip(NEXT) | instid1(VALU_DEP_1)
	s_mul_i32 s13, s13, s9
	v_add_nc_u32_e32 v2, v41, v2
	s_mul_hi_u32 s13, s9, s13
	s_delay_alu instid0(SALU_CYCLE_1) | instskip(NEXT) | instid1(SALU_CYCLE_1)
	s_add_i32 s9, s9, s13
	s_mul_hi_u32 s9, s14, s9
	s_delay_alu instid0(VALU_DEP_1) | instskip(SKIP_1) | instid1(SALU_CYCLE_1)
	v_ashrrev_i32_e32 v2, 3, v2
	s_mul_i32 s13, s9, s8
	s_sub_i32 s13, s14, s13
	s_add_i32 s14, s9, 1
	s_sub_i32 s15, s13, s8
	s_cmp_ge_u32 s13, s8
	s_cselect_b32 s9, s14, s9
	s_cselect_b32 s13, s15, s13
	s_add_i32 s14, s9, 1
	s_cmp_ge_u32 s13, s8
	s_cselect_b32 s8, s14, s9
	s_ashr_i32 s9, s21, 31
	s_xor_b32 s8, s8, s12
	s_lshr_b32 s9, s9, 29
	s_sub_i32 s8, s8, s12
	s_add_i32 s9, s21, s9
	v_mad_u64_u32 v[7:8], null, s8, s21, v[41:42]
	s_ashr_i32 s9, s9, 3
	s_delay_alu instid0(SALU_CYCLE_1) | instskip(SKIP_1) | instid1(VALU_DEP_2)
	v_mad_u64_u32 v[3:4], null, s8, s9, v[2:3]
	s_mov_b32 s8, 0xf000f
	v_ashrrev_i32_e32 v8, 31, v7
	s_delay_alu instid0(VALU_DEP_2) | instskip(NEXT) | instid1(VALU_DEP_1)
	v_ashrrev_i32_e32 v4, 31, v3
	v_lshlrev_b64 v[2:3], 2, v[3:4]
	v_lshlrev_b64 v[4:5], 2, v[5:6]
	s_delay_alu instid0(VALU_DEP_2) | instskip(NEXT) | instid1(VALU_DEP_3)
	v_add_co_u32 v2, vcc_lo, s26, v2
	v_add_co_ci_u32_e32 v3, vcc_lo, s27, v3, vcc_lo
	s_delay_alu instid0(VALU_DEP_3) | instskip(NEXT) | instid1(VALU_DEP_4)
	v_add_co_u32 v4, vcc_lo, s24, v4
	v_add_co_ci_u32_e32 v5, vcc_lo, s25, v5, vcc_lo
	global_load_b32 v6, v[2:3], off
	v_lshlrev_b64 v[2:3], 1, v[7:8]
	global_load_b32 v4, v[4:5], off
	v_lshlrev_b32_e32 v5, 1, v47
	v_add_co_u32 v2, vcc_lo, s30, v2
	v_add_co_ci_u32_e32 v3, vcc_lo, s31, v3, vcc_lo
	s_delay_alu instid0(VALU_DEP_3) | instskip(SKIP_3) | instid1(VALU_DEP_1)
	v_lshl_or_b32 v5, v46, 10, v5
	global_load_u16 v2, v[2:3], off
	v_and_b32_e32 v3, 28, v33
	s_waitcnt vmcnt(2)
	v_bfe_u32 v3, v6, v3, 4
	s_waitcnt vmcnt(1)
	v_lshrrev_b32_e32 v8, 12, v4
	v_lshrrev_b32_e32 v6, 4, v4
	s_delay_alu instid0(VALU_DEP_3)
	v_add_nc_u32_e32 v3, s23, v3
	v_lshrrev_b32_e32 v7, 8, v4
	v_and_or_b32 v4, v4, s8, 0x43004300
	v_and_or_b32 v8, v8, s8, 0x43004300
	;; [unrolled: 1-line block ×3, first 2 shown]
	v_cvt_f32_u32_e32 v3, v3
	v_and_or_b32 v7, v7, s8, 0x43004300
	v_lshlrev_b32_e32 v9, 16, v4
	v_lshlrev_b32_e32 v12, 16, v8
	s_waitcnt vmcnt(0)
	v_dual_add_f32 v3, 0x43000000, v3 :: v_dual_lshlrev_b32 v2, 16, v2
	v_and_b32_e32 v8, 0x430f0000, v8
	v_lshlrev_b32_e32 v10, 16, v6
	v_and_b32_e32 v6, 0x430f0000, v6
	v_lshlrev_b32_e32 v11, 16, v7
	v_mul_f32_e64 v3, v2, -v3
	v_and_b32_e32 v4, 0x430f0000, v4
	v_and_b32_e32 v7, 0x430f0000, v7
	s_delay_alu instid0(VALU_DEP_3) | instskip(NEXT) | instid1(VALU_DEP_3)
	v_fma_f32 v9, v9, v2, v3
	v_fma_f32 v4, v4, v2, v3
	;; [unrolled: 1-line block ×7, first 2 shown]
	v_fmac_f32_e32 v3, v8, v2
	v_bfe_u32 v2, v9, 16, 1
	v_bfe_u32 v8, v4, 16, 1
	;; [unrolled: 1-line block ×8, first 2 shown]
	v_add3_u32 v2, v9, v2, 0x7fff
	v_add3_u32 v4, v4, v8, 0x7fff
	;; [unrolled: 1-line block ×8, first 2 shown]
	ds_store_b16_d16_hi v5, v2
	ds_store_b16_d16_hi v5, v4 offset:128
	ds_store_b16_d16_hi v5, v8 offset:256
	;; [unrolled: 1-line block ×7, first 2 shown]
.LBB13_3:
	s_or_b32 exec_lo, exec_lo, s7
	v_add_nc_u32_e32 v48, s6, v1
	s_cmp_gt_i32 s10, 0
	s_waitcnt lgkmcnt(0)
	s_barrier
	buffer_gl0_inv
	s_cbranch_scc1 .LBB13_5
; %bb.4:
	v_add_nc_u32_e32 v39, s6, v1
	s_mov_b32 s6, 0
	s_mov_b32 s7, 0
	s_branch .LBB13_6
.LBB13_5:
	s_mov_b32 s6, -1
                                        ; implicit-def: $sgpr7
                                        ; implicit-def: $vgpr39
.LBB13_6:
	s_load_b64 s[28:29], s[0:1], 0x20
	v_dual_mov_b32 v32, s7 :: v_dual_mov_b32 v31, s7
	v_dual_mov_b32 v30, s7 :: v_dual_mov_b32 v29, s7
	;; [unrolled: 1-line block ×16, first 2 shown]
	s_and_not1_b32 vcc_lo, exec_lo, s6
	s_cbranch_vccnz .LBB13_18
; %bb.7:
	s_clause 0x1
	s_load_b64 s[8:9], s[0:1], 0x40
	s_load_b64 s[6:7], s[0:1], 0x0
	s_ashr_i32 s0, s21, 31
	s_add_i32 s1, s4, s10
	s_lshr_b32 s0, s0, 29
	v_dual_mov_b32 v25, 0 :: v_dual_lshlrev_b32 v2, 3, v46
	s_add_i32 s0, s21, s0
	v_lshrrev_b32_e32 v1, 29, v34
	s_ashr_i32 s34, s0, 3
	s_delay_alu instid0(VALU_DEP_2) | instskip(SKIP_3) | instid1(VALU_DEP_3)
	v_dual_mov_b32 v29, v25 :: v_dual_lshlrev_b32 v50, 7, v2
	v_or_b32_e32 v3, v48, v45
	v_dual_mov_b32 v27, v25 :: v_dual_add_nc_u32 v4, v48, v45
	v_dual_mov_b32 v26, v25 :: v_dual_and_b32 v49, 28, v33
	v_cmp_gt_i32_e64 s0, s20, v3
	v_mov_b32_e32 v28, v25
	v_mov_b32_e32 v30, v25
	s_waitcnt lgkmcnt(0)
	s_cmp_lg_u64 s[8:9], 0
	v_mov_b32_e32 v31, v25
	s_cselect_b32 s35, -1, 0
	s_abs_i32 s36, s5
	v_mov_b32_e32 v32, v25
	v_cvt_f32_u32_e32 v6, s36
	s_sub_i32 s10, 0, s36
	v_mov_b32_e32 v17, v25
	v_mov_b32_e32 v18, v25
	;; [unrolled: 1-line block ×3, first 2 shown]
	v_rcp_iflag_f32_e32 v2, v6
	v_add_nc_u32_e32 v5, v41, v1
	v_mul_lo_u32 v1, v3, s22
	v_mul_lo_u32 v3, s22, v4
	s_ashr_i32 s22, s5, 31
	s_ashr_i32 s5, s4, 31
	v_mov_b32_e32 v20, v25
	v_mov_b32_e32 v21, v25
	;; [unrolled: 1-line block ×3, first 2 shown]
	s_delay_alu instid0(TRANS32_DEP_1)
	v_dual_mov_b32 v23, v25 :: v_dual_mul_f32 v4, 0x4f7ffffe, v2
	v_ashrrev_i32_e32 v2, 31, v1
	v_ashrrev_i32_e32 v42, 3, v5
	v_mov_b32_e32 v24, v25
	v_mov_b32_e32 v9, v25
	v_cvt_u32_f32_e32 v6, v4
	v_ashrrev_i32_e32 v4, 31, v3
	v_lshlrev_b64 v[1:2], 1, v[1:2]
	v_mov_b32_e32 v10, v25
	v_mov_b32_e32 v11, v25
	v_readfirstlane_b32 s12, v6
	v_lshlrev_b64 v[3:4], 1, v[3:4]
	v_mov_b32_e32 v12, v25
	v_add_co_u32 v51, vcc_lo, s6, v1
	s_delay_alu instid0(VALU_DEP_4)
	s_mul_i32 s10, s10, s12
	v_add_co_ci_u32_e32 v52, vcc_lo, s7, v2, vcc_lo
	s_mul_hi_u32 s13, s12, s10
	s_lshl_b64 s[10:11], s[4:5], 2
	s_add_i32 s37, s12, s13
	s_add_u32 s8, s10, s8
	s_addc_u32 s9, s11, s9
	s_add_u32 s38, s8, 60
	s_addc_u32 s39, s9, 0
	s_lshl_b64 s[8:9], s[4:5], 1
	s_add_i32 s40, s4, 16
	s_add_u32 s4, s6, s8
	s_addc_u32 s5, s7, s9
	v_add_co_u32 v43, vcc_lo, s4, v3
	v_add_co_ci_u32_e32 v44, vcc_lo, s5, v4, vcc_lo
	v_mov_b32_e32 v13, v25
	v_mov_b32_e32 v14, v25
	;; [unrolled: 1-line block ×12, first 2 shown]
	s_mov_b32 s42, 0
	s_xor_b32 s2, s2, -1
	s_mov_b32 s41, 0xf000f
.LBB13_8:                               ; =>This Inner Loop Header: Depth=1
	s_cmp_lt_i32 s40, s1
	s_cselect_b32 s4, -1, 0
	s_delay_alu instid0(SALU_CYCLE_1) | instskip(NEXT) | instid1(SALU_CYCLE_1)
	s_and_b32 s5, s2, s4
	s_and_saveexec_b32 s4, s5
	s_cbranch_execz .LBB13_10
; %bb.9:                                ;   in Loop: Header=BB13_8 Depth=1
	s_abs_i32 s6, s40
	s_ashr_i32 s5, s40, 31
	s_mul_hi_u32 s8, s6, s37
	s_lshr_b32 s7, s5, 29
	s_mul_i32 s9, s8, s36
	s_add_i32 s7, s40, s7
	s_sub_i32 s6, s6, s9
	s_ashr_i32 s7, s7, 3
	s_xor_b32 s5, s5, s22
	s_add_i32 s9, s8, 1
	s_sub_i32 s10, s6, s36
	s_cmp_ge_u32 s6, s36
	v_add_nc_u32_e32 v37, s7, v46
	s_cselect_b32 s8, s9, s8
	s_cselect_b32 s6, s10, s6
	s_add_i32 s9, s8, 1
	s_cmp_ge_u32 s6, s36
	v_mad_u64_u32 v[35:36], null, v37, s21, v[41:42]
	s_cselect_b32 s6, s9, s8
	s_delay_alu instid0(SALU_CYCLE_1) | instskip(NEXT) | instid1(SALU_CYCLE_1)
	s_xor_b32 s6, s6, s5
	s_sub_i32 s5, s6, s5
	s_delay_alu instid0(SALU_CYCLE_1) | instskip(SKIP_1) | instid1(VALU_DEP_3)
	v_mad_u64_u32 v[33:34], null, s5, s34, v[42:43]
	v_mad_u64_u32 v[37:38], null, s5, s21, v[41:42]
	v_ashrrev_i32_e32 v36, 31, v35
	s_lshl_b32 s5, s42, 11
	s_delay_alu instid0(VALU_DEP_3) | instskip(NEXT) | instid1(VALU_DEP_2)
	v_ashrrev_i32_e32 v34, 31, v33
	v_lshlrev_b64 v[35:36], 2, v[35:36]
	s_delay_alu instid0(VALU_DEP_4) | instskip(NEXT) | instid1(VALU_DEP_3)
	v_ashrrev_i32_e32 v38, 31, v37
	v_lshlrev_b64 v[33:34], 2, v[33:34]
	s_delay_alu instid0(VALU_DEP_1) | instskip(NEXT) | instid1(VALU_DEP_2)
	v_add_co_u32 v33, vcc_lo, s26, v33
	v_add_co_ci_u32_e32 v34, vcc_lo, s27, v34, vcc_lo
	v_add_co_u32 v35, vcc_lo, s24, v35
	v_add_co_ci_u32_e32 v36, vcc_lo, s25, v36, vcc_lo
	global_load_b32 v39, v[33:34], off
	v_lshlrev_b64 v[33:34], 1, v[37:38]
	global_load_b32 v35, v[35:36], off
	v_add_co_u32 v33, vcc_lo, s30, v33
	v_add_co_ci_u32_e32 v34, vcc_lo, s31, v34, vcc_lo
	global_load_u16 v33, v[33:34], off
	v_subrev_nc_u32_e32 v34, s5, v50
	s_delay_alu instid0(VALU_DEP_1)
	v_lshl_add_u32 v34, v47, 1, v34
	s_waitcnt vmcnt(2)
	v_bfe_u32 v36, v39, v49, 4
	s_waitcnt vmcnt(1)
	v_lshrrev_b32_e32 v39, 12, v35
	v_lshrrev_b32_e32 v37, 4, v35
	s_delay_alu instid0(VALU_DEP_3)
	v_add_nc_u32_e32 v36, s23, v36
	v_lshrrev_b32_e32 v38, 8, v35
	v_and_or_b32 v35, v35, s41, 0x43004300
	v_and_or_b32 v39, v39, s41, 0x43004300
	;; [unrolled: 1-line block ×3, first 2 shown]
	v_cvt_f32_u32_e32 v36, v36
	v_and_or_b32 v38, v38, s41, 0x43004300
	v_lshlrev_b32_e32 v40, 16, v35
	v_lshlrev_b32_e32 v55, 16, v39
	s_waitcnt vmcnt(0)
	v_dual_add_f32 v36, 0x43000000, v36 :: v_dual_lshlrev_b32 v33, 16, v33
	v_and_b32_e32 v39, 0x430f0000, v39
	v_lshlrev_b32_e32 v53, 16, v37
	v_and_b32_e32 v37, 0x430f0000, v37
	v_lshlrev_b32_e32 v54, 16, v38
	v_mul_f32_e64 v36, v33, -v36
	v_and_b32_e32 v35, 0x430f0000, v35
	v_and_b32_e32 v38, 0x430f0000, v38
	s_delay_alu instid0(VALU_DEP_3) | instskip(NEXT) | instid1(VALU_DEP_3)
	v_fma_f32 v40, v40, v33, v36
	v_fma_f32 v35, v35, v33, v36
	;; [unrolled: 1-line block ×7, first 2 shown]
	v_fmac_f32_e32 v36, v39, v33
	v_bfe_u32 v33, v40, 16, 1
	v_bfe_u32 v39, v35, 16, 1
	v_bfe_u32 v56, v53, 16, 1
	v_bfe_u32 v57, v37, 16, 1
	v_bfe_u32 v58, v54, 16, 1
	v_bfe_u32 v59, v38, 16, 1
	v_bfe_u32 v60, v55, 16, 1
	v_bfe_u32 v61, v36, 16, 1
	v_add3_u32 v33, v40, v33, 0x7fff
	v_add3_u32 v35, v35, v39, 0x7fff
	;; [unrolled: 1-line block ×8, first 2 shown]
	ds_store_b16_d16_hi v34, v33 offset:2048
	ds_store_b16_d16_hi v34, v35 offset:2176
	;; [unrolled: 1-line block ×8, first 2 shown]
.LBB13_10:                              ;   in Loop: Header=BB13_8 Depth=1
	s_or_b32 exec_lo, exec_lo, s4
	v_dual_mov_b32 v33, 0 :: v_dual_mov_b32 v34, 0
	v_dual_mov_b32 v35, 0 :: v_dual_mov_b32 v36, 0
	v_dual_mov_b32 v37, 0 :: v_dual_mov_b32 v38, 0
	v_dual_mov_b32 v39, 0 :: v_dual_mov_b32 v40, 0
	s_and_saveexec_b32 s43, s0
	s_cbranch_execz .LBB13_14
; %bb.11:                               ;   in Loop: Header=BB13_8 Depth=1
	s_and_not1_b32 vcc_lo, exec_lo, s35
	s_cbranch_vccnz .LBB13_16
; %bb.12:                               ;   in Loop: Header=BB13_8 Depth=1
	s_add_u32 s4, s38, 0xffffffc4
	s_addc_u32 s5, s39, -1
	s_load_b512 s[4:19], s[4:5], 0x0
	s_waitcnt lgkmcnt(0)
	s_ashr_i32 s45, s4, 31
	s_mov_b32 s44, s4
	s_ashr_i32 s47, s5, 31
	s_lshl_b64 s[44:45], s[44:45], 1
	s_mov_b32 s46, s5
	v_add_co_u32 v33, vcc_lo, v51, s44
	s_lshl_b64 s[46:47], s[46:47], 1
	s_ashr_i32 s5, s6, 31
	s_mov_b32 s4, s6
	v_add_co_ci_u32_e32 v34, vcc_lo, s45, v52, vcc_lo
	v_add_co_u32 v35, vcc_lo, v51, s46
	s_lshl_b64 s[4:5], s[4:5], 1
	s_ashr_i32 s49, s7, 31
	s_mov_b32 s48, s7
	v_add_co_ci_u32_e32 v36, vcc_lo, s47, v52, vcc_lo
	v_add_co_u32 v37, vcc_lo, v51, s4
	s_lshl_b64 s[48:49], s[48:49], 1
	s_ashr_i32 s7, s8, 31
	v_add_co_ci_u32_e32 v38, vcc_lo, s5, v52, vcc_lo
	s_mov_b32 s6, s8
	v_add_co_u32 v39, vcc_lo, v51, s48
	s_lshl_b64 s[4:5], s[6:7], 1
	v_add_co_ci_u32_e32 v40, vcc_lo, s49, v52, vcc_lo
	s_ashr_i32 s7, s9, 31
	s_mov_b32 s6, s9
	v_add_co_u32 v53, vcc_lo, v51, s4
	v_add_co_ci_u32_e32 v54, vcc_lo, s5, v52, vcc_lo
	s_lshl_b64 s[4:5], s[6:7], 1
	s_ashr_i32 s7, s10, 31
	s_mov_b32 s6, s10
	v_add_co_u32 v55, vcc_lo, v51, s4
	v_add_co_ci_u32_e32 v56, vcc_lo, s5, v52, vcc_lo
	s_lshl_b64 s[4:5], s[6:7], 1
	;; [unrolled: 5-line block ×3, first 2 shown]
	s_ashr_i32 s7, s13, 31
	v_add_co_u32 v59, vcc_lo, v51, s4
	v_add_co_ci_u32_e32 v60, vcc_lo, s5, v52, vcc_lo
	s_ashr_i32 s5, s12, 31
	s_mov_b32 s4, s12
	s_clause 0x7
	global_load_u16 v61, v[33:34], off
	global_load_u16 v62, v[35:36], off
	global_load_u16 v63, v[37:38], off
	global_load_u16 v64, v[39:40], off
	global_load_u16 v65, v[53:54], off
	global_load_u16 v66, v[55:56], off
	global_load_u16 v67, v[57:58], off
	global_load_u16 v68, v[59:60], off
	s_lshl_b64 s[4:5], s[4:5], 1
	s_mov_b32 s6, s13
	v_add_co_u32 v33, vcc_lo, v51, s4
	v_add_co_ci_u32_e32 v34, vcc_lo, s5, v52, vcc_lo
	s_lshl_b64 s[4:5], s[6:7], 1
	s_ashr_i32 s7, s14, 31
	s_mov_b32 s6, s14
	v_add_co_u32 v35, vcc_lo, v51, s4
	v_add_co_ci_u32_e32 v36, vcc_lo, s5, v52, vcc_lo
	s_lshl_b64 s[4:5], s[6:7], 1
	s_ashr_i32 s7, s15, 31
	s_mov_b32 s6, s15
	v_add_co_u32 v37, vcc_lo, v51, s4
	v_add_co_ci_u32_e32 v38, vcc_lo, s5, v52, vcc_lo
	s_lshl_b64 s[4:5], s[6:7], 1
	s_ashr_i32 s7, s16, 31
	s_mov_b32 s6, s16
	v_add_co_u32 v39, vcc_lo, v51, s4
	v_add_co_ci_u32_e32 v40, vcc_lo, s5, v52, vcc_lo
	s_lshl_b64 s[4:5], s[6:7], 1
	s_ashr_i32 s7, s17, 31
	s_mov_b32 s6, s17
	v_add_co_u32 v53, vcc_lo, v51, s4
	v_add_co_ci_u32_e32 v54, vcc_lo, s5, v52, vcc_lo
	s_lshl_b64 s[4:5], s[6:7], 1
	s_ashr_i32 s7, s18, 31
	s_mov_b32 s6, s18
	v_add_co_u32 v55, vcc_lo, v51, s4
	v_add_co_ci_u32_e32 v56, vcc_lo, s5, v52, vcc_lo
	s_lshl_b64 s[4:5], s[6:7], 1
	s_ashr_i32 s7, s19, 31
	s_mov_b32 s6, s19
	v_add_co_u32 v57, vcc_lo, v51, s4
	v_add_co_ci_u32_e32 v58, vcc_lo, s5, v52, vcc_lo
	s_lshl_b64 s[4:5], s[6:7], 1
	s_delay_alu instid0(SALU_CYCLE_1)
	v_add_co_u32 v59, vcc_lo, v51, s4
	v_add_co_ci_u32_e32 v60, vcc_lo, s5, v52, vcc_lo
	s_clause 0x7
	global_load_u16 v69, v[33:34], off
	global_load_u16 v70, v[35:36], off
	;; [unrolled: 1-line block ×8, first 2 shown]
	s_waitcnt vmcnt(14)
	v_perm_b32 v33, v62, v61, 0x5040100
	s_waitcnt vmcnt(12)
	v_perm_b32 v34, v64, v63, 0x5040100
	;; [unrolled: 2-line block ×8, first 2 shown]
	s_cbranch_execnz .LBB13_14
.LBB13_13:                              ;   in Loop: Header=BB13_8 Depth=1
	s_clause 0x1
	global_load_b128 v[33:36], v[43:44], off
	global_load_b128 v[37:40], v[43:44], off offset:16
.LBB13_14:                              ;   in Loop: Header=BB13_8 Depth=1
	s_or_b32 exec_lo, exec_lo, s43
	v_lshlrev_b32_e32 v53, 1, v45
	v_add_co_u32 v43, vcc_lo, v43, 32
	v_add_co_ci_u32_e32 v44, vcc_lo, 0, v44, vcc_lo
	s_delay_alu instid0(VALU_DEP_3)
	v_lshl_or_b32 v53, s42, 11, v53
	s_sub_i32 s42, 1, s42
	s_add_u32 s38, s38, 64
	s_addc_u32 s39, s39, 0
	s_add_i32 s4, s40, 16
	ds_load_u16 v54, v53 offset:256
	ds_load_u16 v61, v53 offset:384
	;; [unrolled: 1-line block ×31, first 2 shown]
	s_waitcnt lgkmcnt(20)
	v_perm_b32 v60, v58, v57, 0x5040100
	ds_load_u16 v86, v53 offset:1696
	ds_load_u16 v87, v53 offset:1728
	;; [unrolled: 1-line block ×3, first 2 shown]
	v_perm_b32 v55, v63, v55, 0x5040100
	v_perm_b32 v54, v61, v54, 0x5040100
	s_waitcnt lgkmcnt(18)
	v_perm_b32 v59, v66, v59, 0x5040100
	ds_load_u16 v66, v53 offset:1440
	ds_load_u16 v89, v53 offset:1472
	ds_load_u16 v90, v53 offset:1504
	ds_load_u16 v91, v53 offset:1376
	s_waitcnt lgkmcnt(21)
	v_perm_b32 v57, v67, v56, 0x5040100
	s_waitcnt lgkmcnt(19)
	v_perm_b32 v58, v72, v68, 0x5040100
	ds_load_u16 v72, v53 offset:1184
	ds_load_u16 v92, v53 offset:1216
	;; [unrolled: 1-line block ×8, first 2 shown]
	s_cmp_ge_i32 s40, s1
	s_waitcnt lgkmcnt(23)
	v_perm_b32 v68, v76, v74, 0x5040100
	s_waitcnt lgkmcnt(22)
	v_perm_b32 v76, v78, v75, 0x5040100
	;; [unrolled: 2-line block ×3, first 2 shown]
	ds_load_u16 v73, v53 offset:672
	ds_load_u16 v83, v53 offset:704
	;; [unrolled: 1-line block ×10, first 2 shown]
	ds_load_u16 v61, v53
	ds_load_u16 v63, v53 offset:128
	ds_load_u16 v107, v53 offset:160
	;; [unrolled: 1-line block ×7, first 2 shown]
	s_waitcnt lgkmcnt(32)
	v_perm_b32 v67, v86, v65, 0x5040100
	s_waitcnt lgkmcnt(29)
	v_perm_b32 v66, v66, v81, 0x5040100
	v_perm_b32 v75, v87, v71, 0x5040100
	s_waitcnt lgkmcnt(28)
	v_perm_b32 v74, v89, v82, 0x5040100
	s_waitcnt lgkmcnt(25)
	;; [unrolled: 2-line block ×4, first 2 shown]
	v_perm_b32 v72, v96, v85, 0x5040100
	v_perm_b32 v84, v79, v80, 0x5040100
	;; [unrolled: 1-line block ×4, first 2 shown]
	s_waitcnt lgkmcnt(18)
	v_perm_b32 v80, v97, v98, 0x5040100
	s_waitcnt vmcnt(0) lgkmcnt(0)
	s_barrier
	v_perm_b32 v53, v63, v61, 0x5040100
	v_perm_b32 v63, v73, v62, 0x5040100
	;; [unrolled: 1-line block ×12, first 2 shown]
	v_wmma_f32_16x16x16_bf16 v[25:32], v[33:40], v[53:60], v[25:32]
	v_wmma_f32_16x16x16_bf16 v[17:24], v[33:40], v[61:68], v[17:24]
	;; [unrolled: 1-line block ×3, first 2 shown]
	buffer_gl0_inv
	v_wmma_f32_16x16x16_bf16 v[1:8], v[33:40], v[77:84], v[1:8]
	s_cbranch_scc1 .LBB13_17
; %bb.15:                               ;   in Loop: Header=BB13_8 Depth=1
	s_mov_b32 s40, s4
	s_branch .LBB13_8
.LBB13_16:                              ;   in Loop: Header=BB13_8 Depth=1
                                        ; implicit-def: $vgpr40
	s_branch .LBB13_13
.LBB13_17:
	v_mov_b32_e32 v39, v48
.LBB13_18:
	s_cmp_lt_u32 s33, 2
	v_or_b32_e32 v33, s3, v45
	s_cselect_b32 s2, -1, 0
	s_mov_b32 s0, -1
	s_and_b32 vcc_lo, exec_lo, s2
	s_cbranch_vccz .LBB13_69
; %bb.19:
	s_mov_b32 s0, exec_lo
	v_cmpx_gt_i32_e64 s21, v33
	s_cbranch_execz .LBB13_68
; %bb.20:
	v_or_b32_e32 v35, v39, v46
	v_ashrrev_i32_e32 v34, 31, v33
	s_mov_b32 s1, exec_lo
	s_delay_alu instid0(VALU_DEP_2)
	v_cmpx_gt_i32_e64 s20, v35
	s_cbranch_execz .LBB13_26
; %bb.21:
	v_and_b32_e32 v36, 0x7f800000, v25
	s_delay_alu instid0(VALU_DEP_1) | instskip(SKIP_1) | instid1(SALU_CYCLE_1)
	v_cmp_ne_u32_e32 vcc_lo, 0x7f800000, v36
                                        ; implicit-def: $vgpr36
	s_and_saveexec_b32 s4, vcc_lo
	s_xor_b32 s4, exec_lo, s4
; %bb.22:
	v_bfe_u32 v36, v25, 16, 1
	s_delay_alu instid0(VALU_DEP_1)
	v_add3_u32 v36, v25, v36, 0x7fff
; %bb.23:
	s_and_not1_saveexec_b32 s4, s4
; %bb.24:
	v_and_b32_e32 v36, 0xffff, v25
	v_or_b32_e32 v37, 0x10000, v25
	s_delay_alu instid0(VALU_DEP_2) | instskip(NEXT) | instid1(VALU_DEP_2)
	v_cmp_eq_u32_e32 vcc_lo, 0, v36
	v_cndmask_b32_e32 v36, v37, v25, vcc_lo
; %bb.25:
	s_or_b32 exec_lo, exec_lo, s4
	v_mul_lo_u32 v37, v35, s21
	v_lshlrev_b64 v[40:41], 1, v[33:34]
	s_delay_alu instid0(VALU_DEP_2) | instskip(NEXT) | instid1(VALU_DEP_1)
	v_ashrrev_i32_e32 v38, 31, v37
	v_lshlrev_b64 v[37:38], 1, v[37:38]
	s_waitcnt lgkmcnt(0)
	s_delay_alu instid0(VALU_DEP_1) | instskip(NEXT) | instid1(VALU_DEP_2)
	v_add_co_u32 v37, vcc_lo, s28, v37
	v_add_co_ci_u32_e32 v38, vcc_lo, s29, v38, vcc_lo
	s_delay_alu instid0(VALU_DEP_2) | instskip(NEXT) | instid1(VALU_DEP_2)
	v_add_co_u32 v37, vcc_lo, v37, v40
	v_add_co_ci_u32_e32 v38, vcc_lo, v38, v41, vcc_lo
	global_store_d16_hi_b16 v[37:38], v36, off
.LBB13_26:
	s_or_b32 exec_lo, exec_lo, s1
	v_or_b32_e32 v36, 2, v35
	s_mov_b32 s1, exec_lo
	s_delay_alu instid0(VALU_DEP_1)
	v_cmpx_gt_i32_e64 s20, v36
	s_cbranch_execz .LBB13_32
; %bb.27:
	v_and_b32_e32 v37, 0x7f800000, v26
	s_delay_alu instid0(VALU_DEP_1) | instskip(SKIP_1) | instid1(SALU_CYCLE_1)
	v_cmp_ne_u32_e32 vcc_lo, 0x7f800000, v37
                                        ; implicit-def: $vgpr37
	s_and_saveexec_b32 s4, vcc_lo
	s_xor_b32 s4, exec_lo, s4
; %bb.28:
	v_bfe_u32 v37, v26, 16, 1
	s_delay_alu instid0(VALU_DEP_1)
	v_add3_u32 v37, v26, v37, 0x7fff
; %bb.29:
	s_and_not1_saveexec_b32 s4, s4
; %bb.30:
	v_and_b32_e32 v37, 0xffff, v26
	v_or_b32_e32 v38, 0x10000, v26
	s_delay_alu instid0(VALU_DEP_2) | instskip(NEXT) | instid1(VALU_DEP_2)
	v_cmp_eq_u32_e32 vcc_lo, 0, v37
	v_cndmask_b32_e32 v37, v38, v26, vcc_lo
; %bb.31:
	s_or_b32 exec_lo, exec_lo, s4
	v_mul_lo_u32 v40, v36, s21
	v_lshlrev_b64 v[42:43], 1, v[33:34]
	s_delay_alu instid0(VALU_DEP_2) | instskip(NEXT) | instid1(VALU_DEP_1)
	v_ashrrev_i32_e32 v41, 31, v40
	v_lshlrev_b64 v[40:41], 1, v[40:41]
	s_waitcnt lgkmcnt(0)
	s_delay_alu instid0(VALU_DEP_1) | instskip(NEXT) | instid1(VALU_DEP_2)
	v_add_co_u32 v36, vcc_lo, s28, v40
	v_add_co_ci_u32_e32 v38, vcc_lo, s29, v41, vcc_lo
	s_delay_alu instid0(VALU_DEP_2) | instskip(NEXT) | instid1(VALU_DEP_2)
	v_add_co_u32 v40, vcc_lo, v36, v42
	v_add_co_ci_u32_e32 v41, vcc_lo, v38, v43, vcc_lo
	global_store_d16_hi_b16 v[40:41], v37, off
.LBB13_32:
	s_or_b32 exec_lo, exec_lo, s1
	v_or_b32_e32 v36, 4, v35
	s_mov_b32 s1, exec_lo
	s_delay_alu instid0(VALU_DEP_1)
	v_cmpx_gt_i32_e64 s20, v36
	s_cbranch_execz .LBB13_38
; %bb.33:
	v_and_b32_e32 v37, 0x7f800000, v27
	s_delay_alu instid0(VALU_DEP_1) | instskip(SKIP_1) | instid1(SALU_CYCLE_1)
	v_cmp_ne_u32_e32 vcc_lo, 0x7f800000, v37
                                        ; implicit-def: $vgpr37
	s_and_saveexec_b32 s4, vcc_lo
	s_xor_b32 s4, exec_lo, s4
; %bb.34:
	v_bfe_u32 v37, v27, 16, 1
	s_delay_alu instid0(VALU_DEP_1)
	v_add3_u32 v37, v27, v37, 0x7fff
; %bb.35:
	s_and_not1_saveexec_b32 s4, s4
; %bb.36:
	v_and_b32_e32 v37, 0xffff, v27
	v_or_b32_e32 v38, 0x10000, v27
	s_delay_alu instid0(VALU_DEP_2) | instskip(NEXT) | instid1(VALU_DEP_2)
	v_cmp_eq_u32_e32 vcc_lo, 0, v37
	v_cndmask_b32_e32 v37, v38, v27, vcc_lo
; %bb.37:
	s_or_b32 exec_lo, exec_lo, s4
	v_mul_lo_u32 v40, v36, s21
	v_lshlrev_b64 v[42:43], 1, v[33:34]
	s_delay_alu instid0(VALU_DEP_2) | instskip(NEXT) | instid1(VALU_DEP_1)
	v_ashrrev_i32_e32 v41, 31, v40
	v_lshlrev_b64 v[40:41], 1, v[40:41]
	s_waitcnt lgkmcnt(0)
	s_delay_alu instid0(VALU_DEP_1) | instskip(NEXT) | instid1(VALU_DEP_2)
	v_add_co_u32 v36, vcc_lo, s28, v40
	v_add_co_ci_u32_e32 v38, vcc_lo, s29, v41, vcc_lo
	s_delay_alu instid0(VALU_DEP_2) | instskip(NEXT) | instid1(VALU_DEP_2)
	v_add_co_u32 v40, vcc_lo, v36, v42
	v_add_co_ci_u32_e32 v41, vcc_lo, v38, v43, vcc_lo
	global_store_d16_hi_b16 v[40:41], v37, off
.LBB13_38:
	;; [unrolled: 41-line block ×6, first 2 shown]
	s_or_b32 exec_lo, exec_lo, s1
	v_or_b32_e32 v35, 14, v35
	s_delay_alu instid0(VALU_DEP_1)
	v_cmp_gt_i32_e32 vcc_lo, s20, v35
	s_and_b32 exec_lo, exec_lo, vcc_lo
	s_cbranch_execz .LBB13_68
; %bb.63:
	v_and_b32_e32 v36, 0x7f800000, v32
	s_delay_alu instid0(VALU_DEP_1) | instskip(SKIP_1) | instid1(SALU_CYCLE_1)
	v_cmp_ne_u32_e32 vcc_lo, 0x7f800000, v36
                                        ; implicit-def: $vgpr36
	s_and_saveexec_b32 s1, vcc_lo
	s_xor_b32 s1, exec_lo, s1
; %bb.64:
	v_bfe_u32 v36, v32, 16, 1
	s_delay_alu instid0(VALU_DEP_1)
	v_add3_u32 v36, v32, v36, 0x7fff
; %bb.65:
	s_and_not1_saveexec_b32 s1, s1
; %bb.66:
	v_and_b32_e32 v36, 0xffff, v32
	v_or_b32_e32 v37, 0x10000, v32
	s_delay_alu instid0(VALU_DEP_2) | instskip(NEXT) | instid1(VALU_DEP_2)
	v_cmp_eq_u32_e32 vcc_lo, 0, v36
	v_cndmask_b32_e32 v36, v37, v32, vcc_lo
; %bb.67:
	s_or_b32 exec_lo, exec_lo, s1
	v_mul_lo_u32 v37, v35, s21
	v_lshlrev_b64 v[34:35], 1, v[33:34]
	s_delay_alu instid0(VALU_DEP_2) | instskip(NEXT) | instid1(VALU_DEP_1)
	v_ashrrev_i32_e32 v38, 31, v37
	v_lshlrev_b64 v[37:38], 1, v[37:38]
	s_waitcnt lgkmcnt(0)
	s_delay_alu instid0(VALU_DEP_1) | instskip(NEXT) | instid1(VALU_DEP_2)
	v_add_co_u32 v37, vcc_lo, s28, v37
	v_add_co_ci_u32_e32 v38, vcc_lo, s29, v38, vcc_lo
	s_delay_alu instid0(VALU_DEP_2) | instskip(NEXT) | instid1(VALU_DEP_2)
	v_add_co_u32 v34, vcc_lo, v37, v34
	v_add_co_ci_u32_e32 v35, vcc_lo, v38, v35, vcc_lo
	global_store_d16_hi_b16 v[34:35], v36, off
.LBB13_68:
	s_or_b32 exec_lo, exec_lo, s0
	s_mov_b32 s0, 0
.LBB13_69:
	v_and_b32_e32 v0, 1, v0
	v_mbcnt_lo_u32_b32 v40, -1, 0
	s_and_not1_b32 vcc_lo, exec_lo, s0
	s_cbranch_vccnz .LBB13_231
; %bb.70:
	s_delay_alu instid0(VALU_DEP_1) | instskip(NEXT) | instid1(VALU_DEP_1)
	v_xor_b32_e32 v34, 1, v40
	v_cmp_gt_i32_e32 vcc_lo, 32, v34
	v_cndmask_b32_e32 v34, v40, v34, vcc_lo
	v_cmp_eq_u32_e32 vcc_lo, 0, v0
	s_delay_alu instid0(VALU_DEP_2)
	v_lshlrev_b32_e32 v41, 2, v34
	v_ashrrev_i32_e32 v34, 31, v33
	ds_bpermute_b32 v35, v41, v25
	s_and_saveexec_b32 s4, vcc_lo
	s_cbranch_execz .LBB13_90
; %bb.71:
	v_or_b32_e32 v36, v39, v46
	v_cmp_gt_i32_e64 s1, s21, v33
	s_delay_alu instid0(VALU_DEP_2) | instskip(NEXT) | instid1(VALU_DEP_1)
	v_cmp_gt_i32_e64 s0, s20, v36
	s_and_b32 s0, s0, s1
	s_delay_alu instid0(SALU_CYCLE_1)
	s_and_b32 exec_lo, exec_lo, s0
	s_cbranch_execz .LBB13_90
; %bb.72:
	v_and_b32_e32 v37, 0x7f800000, v25
	s_delay_alu instid0(VALU_DEP_1) | instskip(NEXT) | instid1(VALU_DEP_1)
	v_cmp_ne_u32_e64 s0, 0x7f800000, v37
                                        ; implicit-def: $vgpr37
	s_and_saveexec_b32 s1, s0
	s_delay_alu instid0(SALU_CYCLE_1)
	s_xor_b32 s0, exec_lo, s1
; %bb.73:
	v_bfe_u32 v37, v25, 16, 1
	s_delay_alu instid0(VALU_DEP_1)
	v_add3_u32 v37, v25, v37, 0x7fff
; %bb.74:
	s_and_not1_saveexec_b32 s1, s0
; %bb.75:
	v_and_b32_e32 v37, 0xffff, v25
	v_or_b32_e32 v38, 0x10000, v25
	s_delay_alu instid0(VALU_DEP_2) | instskip(NEXT) | instid1(VALU_DEP_1)
	v_cmp_eq_u32_e64 s0, 0, v37
	v_cndmask_b32_e64 v37, v38, v25, s0
; %bb.76:
	s_or_b32 exec_lo, exec_lo, s1
	s_waitcnt lgkmcnt(0)
	v_and_b32_e32 v25, 0x7f800000, v35
                                        ; implicit-def: $vgpr42
	s_delay_alu instid0(VALU_DEP_1) | instskip(NEXT) | instid1(VALU_DEP_1)
	v_cmp_ne_u32_e64 s0, 0x7f800000, v25
	s_and_saveexec_b32 s1, s0
	s_delay_alu instid0(SALU_CYCLE_1)
	s_xor_b32 s0, exec_lo, s1
; %bb.77:
	v_bfe_u32 v25, v35, 16, 1
	s_delay_alu instid0(VALU_DEP_1)
	v_add3_u32 v42, v35, v25, 0x7fff
                                        ; implicit-def: $vgpr35
; %bb.78:
	s_and_not1_saveexec_b32 s1, s0
; %bb.79:
	v_and_b32_e32 v25, 0xffff, v35
	v_or_b32_e32 v38, 0x10000, v35
	s_delay_alu instid0(VALU_DEP_2) | instskip(NEXT) | instid1(VALU_DEP_1)
	v_cmp_eq_u32_e64 s0, 0, v25
	v_cndmask_b32_e64 v42, v38, v35, s0
; %bb.80:
	s_or_b32 exec_lo, exec_lo, s1
	v_mul_lo_u32 v35, v36, s21
	v_lshlrev_b64 v[43:44], 1, v[33:34]
	s_delay_alu instid0(VALU_DEP_3) | instskip(SKIP_1) | instid1(VALU_DEP_3)
	v_and_b32_e32 v42, 0xffff0000, v42
	s_mov_b32 s1, 0
	v_ashrrev_i32_e32 v36, 31, v35
	s_delay_alu instid0(VALU_DEP_1) | instskip(NEXT) | instid1(VALU_DEP_1)
	v_lshlrev_b64 v[35:36], 1, v[35:36]
	v_add_co_u32 v25, s0, s28, v35
	s_delay_alu instid0(VALU_DEP_1) | instskip(NEXT) | instid1(VALU_DEP_2)
	v_add_co_ci_u32_e64 v36, s0, s29, v36, s0
	v_add_co_u32 v35, s0, v25, v43
	s_delay_alu instid0(VALU_DEP_1)
	v_add_co_ci_u32_e64 v36, s0, v36, v44, s0
	v_and_b32_e32 v25, 0xffff0000, v37
	global_load_b32 v38, v[35:36], off
	s_branch .LBB13_82
.LBB13_81:                              ;   in Loop: Header=BB13_82 Depth=1
	s_or_b32 exec_lo, exec_lo, s5
	v_lshrrev_b32_e32 v37, 16, v37
	s_delay_alu instid0(VALU_DEP_1) | instskip(SKIP_4) | instid1(VALU_DEP_2)
	v_and_or_b32 v37, 0xffff0000, v44, v37
	global_atomic_cmpswap_b32 v37, v[35:36], v[37:38], off glc
	s_waitcnt vmcnt(0)
	v_cmp_eq_u32_e64 s0, v37, v38
	v_mov_b32_e32 v38, v37
	s_or_b32 s1, s0, s1
	s_delay_alu instid0(SALU_CYCLE_1)
	s_and_not1_b32 exec_lo, exec_lo, s1
	s_cbranch_execz .LBB13_90
.LBB13_82:                              ; =>This Inner Loop Header: Depth=1
	s_waitcnt vmcnt(0)
	v_lshlrev_b32_e32 v37, 16, v38
	s_delay_alu instid0(VALU_DEP_1) | instskip(NEXT) | instid1(VALU_DEP_1)
	v_add_f32_e32 v43, v25, v37
	v_and_b32_e32 v37, 0x7f800000, v43
	s_delay_alu instid0(VALU_DEP_1) | instskip(NEXT) | instid1(VALU_DEP_1)
	v_cmp_ne_u32_e64 s0, 0x7f800000, v37
                                        ; implicit-def: $vgpr37
	s_and_saveexec_b32 s5, s0
	s_delay_alu instid0(SALU_CYCLE_1)
	s_xor_b32 s0, exec_lo, s5
; %bb.83:                               ;   in Loop: Header=BB13_82 Depth=1
	v_bfe_u32 v37, v43, 16, 1
	s_delay_alu instid0(VALU_DEP_1)
	v_add3_u32 v37, v43, v37, 0x7fff
                                        ; implicit-def: $vgpr43
; %bb.84:                               ;   in Loop: Header=BB13_82 Depth=1
	s_and_not1_saveexec_b32 s5, s0
; %bb.85:                               ;   in Loop: Header=BB13_82 Depth=1
	v_and_b32_e32 v37, 0xffff, v43
	v_or_b32_e32 v44, 0x10000, v43
	s_delay_alu instid0(VALU_DEP_2) | instskip(NEXT) | instid1(VALU_DEP_1)
	v_cmp_eq_u32_e64 s0, 0, v37
	v_cndmask_b32_e64 v37, v44, v43, s0
; %bb.86:                               ;   in Loop: Header=BB13_82 Depth=1
	s_or_b32 exec_lo, exec_lo, s5
	v_and_b32_e32 v43, 0xffff0000, v38
	s_delay_alu instid0(VALU_DEP_1) | instskip(NEXT) | instid1(VALU_DEP_1)
	v_add_f32_e32 v43, v42, v43
	v_and_b32_e32 v44, 0x7f800000, v43
	s_delay_alu instid0(VALU_DEP_1) | instskip(NEXT) | instid1(VALU_DEP_1)
	v_cmp_ne_u32_e64 s0, 0x7f800000, v44
                                        ; implicit-def: $vgpr44
	s_and_saveexec_b32 s5, s0
	s_delay_alu instid0(SALU_CYCLE_1)
	s_xor_b32 s0, exec_lo, s5
; %bb.87:                               ;   in Loop: Header=BB13_82 Depth=1
	v_bfe_u32 v44, v43, 16, 1
	s_delay_alu instid0(VALU_DEP_1)
	v_add3_u32 v44, v43, v44, 0x7fff
                                        ; implicit-def: $vgpr43
; %bb.88:                               ;   in Loop: Header=BB13_82 Depth=1
	s_and_not1_saveexec_b32 s5, s0
	s_cbranch_execz .LBB13_81
; %bb.89:                               ;   in Loop: Header=BB13_82 Depth=1
	v_and_b32_e32 v44, 0xffff, v43
	v_or_b32_e32 v47, 0x10000, v43
	s_delay_alu instid0(VALU_DEP_2) | instskip(NEXT) | instid1(VALU_DEP_1)
	v_cmp_eq_u32_e64 s0, 0, v44
	v_cndmask_b32_e64 v44, v47, v43, s0
	s_branch .LBB13_81
.LBB13_90:
	s_or_b32 exec_lo, exec_lo, s4
	s_waitcnt lgkmcnt(0)
	ds_bpermute_b32 v35, v41, v26
	s_and_saveexec_b32 s4, vcc_lo
	s_cbranch_execz .LBB13_110
; %bb.91:
	v_or3_b32 v25, v46, v39, 2
	v_cmp_gt_i32_e64 s1, s21, v33
	s_delay_alu instid0(VALU_DEP_2) | instskip(NEXT) | instid1(VALU_DEP_1)
	v_cmp_gt_i32_e64 s0, s20, v25
	s_and_b32 s0, s0, s1
	s_delay_alu instid0(SALU_CYCLE_1)
	s_and_b32 exec_lo, exec_lo, s0
	s_cbranch_execz .LBB13_110
; %bb.92:
	v_and_b32_e32 v36, 0x7f800000, v26
                                        ; implicit-def: $vgpr37
	s_delay_alu instid0(VALU_DEP_1) | instskip(NEXT) | instid1(VALU_DEP_1)
	v_cmp_ne_u32_e64 s0, 0x7f800000, v36
	s_and_saveexec_b32 s1, s0
	s_delay_alu instid0(SALU_CYCLE_1)
	s_xor_b32 s0, exec_lo, s1
; %bb.93:
	v_bfe_u32 v36, v26, 16, 1
	s_delay_alu instid0(VALU_DEP_1)
	v_add3_u32 v37, v26, v36, 0x7fff
; %bb.94:
	s_and_not1_saveexec_b32 s1, s0
; %bb.95:
	v_and_b32_e32 v36, 0xffff, v26
	v_or_b32_e32 v37, 0x10000, v26
	s_delay_alu instid0(VALU_DEP_2) | instskip(NEXT) | instid1(VALU_DEP_1)
	v_cmp_eq_u32_e64 s0, 0, v36
	v_cndmask_b32_e64 v37, v37, v26, s0
; %bb.96:
	s_or_b32 exec_lo, exec_lo, s1
	s_waitcnt lgkmcnt(0)
	v_and_b32_e32 v26, 0x7f800000, v35
                                        ; implicit-def: $vgpr38
	s_delay_alu instid0(VALU_DEP_1) | instskip(NEXT) | instid1(VALU_DEP_1)
	v_cmp_ne_u32_e64 s0, 0x7f800000, v26
	s_and_saveexec_b32 s1, s0
	s_delay_alu instid0(SALU_CYCLE_1)
	s_xor_b32 s0, exec_lo, s1
; %bb.97:
	v_bfe_u32 v26, v35, 16, 1
	s_delay_alu instid0(VALU_DEP_1)
	v_add3_u32 v38, v35, v26, 0x7fff
                                        ; implicit-def: $vgpr35
; %bb.98:
	s_and_not1_saveexec_b32 s1, s0
; %bb.99:
	v_and_b32_e32 v26, 0xffff, v35
	v_or_b32_e32 v36, 0x10000, v35
	s_delay_alu instid0(VALU_DEP_2) | instskip(NEXT) | instid1(VALU_DEP_1)
	v_cmp_eq_u32_e64 s0, 0, v26
	v_cndmask_b32_e64 v38, v36, v35, s0
; %bb.100:
	s_or_b32 exec_lo, exec_lo, s1
	v_mul_lo_u32 v25, v25, s21
	v_lshlrev_b64 v[35:36], 1, v[33:34]
	v_and_b32_e32 v37, 0xffff0000, v37
	v_and_b32_e32 v38, 0xffff0000, v38
	s_mov_b32 s1, 0
	s_delay_alu instid0(VALU_DEP_4) | instskip(NEXT) | instid1(VALU_DEP_1)
	v_ashrrev_i32_e32 v26, 31, v25
	v_lshlrev_b64 v[25:26], 1, v[25:26]
	s_delay_alu instid0(VALU_DEP_1) | instskip(NEXT) | instid1(VALU_DEP_1)
	v_add_co_u32 v25, s0, s28, v25
	v_add_co_ci_u32_e64 v26, s0, s29, v26, s0
	s_delay_alu instid0(VALU_DEP_2) | instskip(NEXT) | instid1(VALU_DEP_1)
	v_add_co_u32 v25, s0, v25, v35
	v_add_co_ci_u32_e64 v26, s0, v26, v36, s0
	global_load_b32 v36, v[25:26], off
	s_branch .LBB13_102
.LBB13_101:                             ;   in Loop: Header=BB13_102 Depth=1
	s_or_b32 exec_lo, exec_lo, s5
	v_lshrrev_b32_e32 v35, 16, v35
	s_delay_alu instid0(VALU_DEP_1) | instskip(SKIP_4) | instid1(VALU_DEP_2)
	v_and_or_b32 v35, 0xffff0000, v43, v35
	global_atomic_cmpswap_b32 v35, v[25:26], v[35:36], off glc
	s_waitcnt vmcnt(0)
	v_cmp_eq_u32_e64 s0, v35, v36
	v_mov_b32_e32 v36, v35
	s_or_b32 s1, s0, s1
	s_delay_alu instid0(SALU_CYCLE_1)
	s_and_not1_b32 exec_lo, exec_lo, s1
	s_cbranch_execz .LBB13_110
.LBB13_102:                             ; =>This Inner Loop Header: Depth=1
	s_waitcnt vmcnt(0)
	v_lshlrev_b32_e32 v35, 16, v36
	s_delay_alu instid0(VALU_DEP_1) | instskip(NEXT) | instid1(VALU_DEP_1)
	v_add_f32_e32 v42, v37, v35
	v_and_b32_e32 v35, 0x7f800000, v42
	s_delay_alu instid0(VALU_DEP_1) | instskip(NEXT) | instid1(VALU_DEP_1)
	v_cmp_ne_u32_e64 s0, 0x7f800000, v35
                                        ; implicit-def: $vgpr35
	s_and_saveexec_b32 s5, s0
	s_delay_alu instid0(SALU_CYCLE_1)
	s_xor_b32 s0, exec_lo, s5
; %bb.103:                              ;   in Loop: Header=BB13_102 Depth=1
	v_bfe_u32 v35, v42, 16, 1
	s_delay_alu instid0(VALU_DEP_1)
	v_add3_u32 v35, v42, v35, 0x7fff
                                        ; implicit-def: $vgpr42
; %bb.104:                              ;   in Loop: Header=BB13_102 Depth=1
	s_and_not1_saveexec_b32 s5, s0
; %bb.105:                              ;   in Loop: Header=BB13_102 Depth=1
	v_and_b32_e32 v35, 0xffff, v42
	v_or_b32_e32 v43, 0x10000, v42
	s_delay_alu instid0(VALU_DEP_2) | instskip(NEXT) | instid1(VALU_DEP_1)
	v_cmp_eq_u32_e64 s0, 0, v35
	v_cndmask_b32_e64 v35, v43, v42, s0
; %bb.106:                              ;   in Loop: Header=BB13_102 Depth=1
	s_or_b32 exec_lo, exec_lo, s5
	v_and_b32_e32 v42, 0xffff0000, v36
	s_delay_alu instid0(VALU_DEP_1) | instskip(NEXT) | instid1(VALU_DEP_1)
	v_add_f32_e32 v42, v38, v42
	v_and_b32_e32 v43, 0x7f800000, v42
	s_delay_alu instid0(VALU_DEP_1) | instskip(NEXT) | instid1(VALU_DEP_1)
	v_cmp_ne_u32_e64 s0, 0x7f800000, v43
                                        ; implicit-def: $vgpr43
	s_and_saveexec_b32 s5, s0
	s_delay_alu instid0(SALU_CYCLE_1)
	s_xor_b32 s0, exec_lo, s5
; %bb.107:                              ;   in Loop: Header=BB13_102 Depth=1
	v_bfe_u32 v43, v42, 16, 1
	s_delay_alu instid0(VALU_DEP_1)
	v_add3_u32 v43, v42, v43, 0x7fff
                                        ; implicit-def: $vgpr42
; %bb.108:                              ;   in Loop: Header=BB13_102 Depth=1
	s_and_not1_saveexec_b32 s5, s0
	s_cbranch_execz .LBB13_101
; %bb.109:                              ;   in Loop: Header=BB13_102 Depth=1
	v_and_b32_e32 v43, 0xffff, v42
	v_or_b32_e32 v44, 0x10000, v42
	s_delay_alu instid0(VALU_DEP_2) | instskip(NEXT) | instid1(VALU_DEP_1)
	v_cmp_eq_u32_e64 s0, 0, v43
	v_cndmask_b32_e64 v43, v44, v42, s0
	s_branch .LBB13_101
.LBB13_110:
	s_or_b32 exec_lo, exec_lo, s4
	ds_bpermute_b32 v26, v41, v27
	s_and_saveexec_b32 s4, vcc_lo
	s_cbranch_execz .LBB13_130
; %bb.111:
	v_or3_b32 v25, v46, v39, 4
	v_cmp_gt_i32_e64 s1, s21, v33
	s_delay_alu instid0(VALU_DEP_2) | instskip(NEXT) | instid1(VALU_DEP_1)
	v_cmp_gt_i32_e64 s0, s20, v25
	s_and_b32 s0, s0, s1
	s_delay_alu instid0(SALU_CYCLE_1)
	s_and_b32 exec_lo, exec_lo, s0
	s_cbranch_execz .LBB13_130
; %bb.112:
	s_waitcnt lgkmcnt(1)
	v_and_b32_e32 v35, 0x7f800000, v27
	s_delay_alu instid0(VALU_DEP_1) | instskip(NEXT) | instid1(VALU_DEP_1)
	v_cmp_ne_u32_e64 s0, 0x7f800000, v35
                                        ; implicit-def: $vgpr35
	s_and_saveexec_b32 s1, s0
	s_delay_alu instid0(SALU_CYCLE_1)
	s_xor_b32 s0, exec_lo, s1
; %bb.113:
	v_bfe_u32 v35, v27, 16, 1
	s_delay_alu instid0(VALU_DEP_1)
	v_add3_u32 v35, v27, v35, 0x7fff
; %bb.114:
	s_and_not1_saveexec_b32 s1, s0
; %bb.115:
	v_and_b32_e32 v35, 0xffff, v27
	v_or_b32_e32 v36, 0x10000, v27
	s_delay_alu instid0(VALU_DEP_2) | instskip(NEXT) | instid1(VALU_DEP_1)
	v_cmp_eq_u32_e64 s0, 0, v35
	v_cndmask_b32_e64 v35, v36, v27, s0
; %bb.116:
	s_or_b32 exec_lo, exec_lo, s1
	s_waitcnt lgkmcnt(0)
	v_and_b32_e32 v27, 0x7f800000, v26
                                        ; implicit-def: $vgpr37
	s_delay_alu instid0(VALU_DEP_1) | instskip(NEXT) | instid1(VALU_DEP_1)
	v_cmp_ne_u32_e64 s0, 0x7f800000, v27
	s_and_saveexec_b32 s1, s0
	s_delay_alu instid0(SALU_CYCLE_1)
	s_xor_b32 s0, exec_lo, s1
; %bb.117:
	v_bfe_u32 v27, v26, 16, 1
	s_delay_alu instid0(VALU_DEP_1)
	v_add3_u32 v37, v26, v27, 0x7fff
                                        ; implicit-def: $vgpr26
; %bb.118:
	s_and_not1_saveexec_b32 s1, s0
; %bb.119:
	v_and_b32_e32 v27, 0xffff, v26
	v_or_b32_e32 v36, 0x10000, v26
	s_delay_alu instid0(VALU_DEP_2) | instskip(NEXT) | instid1(VALU_DEP_1)
	v_cmp_eq_u32_e64 s0, 0, v27
	v_cndmask_b32_e64 v37, v36, v26, s0
; %bb.120:
	s_or_b32 exec_lo, exec_lo, s1
	v_mul_lo_u32 v25, v25, s21
	v_lshlrev_b64 v[42:43], 1, v[33:34]
	v_and_b32_e32 v27, 0xffff0000, v35
	v_and_b32_e32 v37, 0xffff0000, v37
	s_mov_b32 s1, 0
	s_delay_alu instid0(VALU_DEP_4) | instskip(NEXT) | instid1(VALU_DEP_1)
	v_ashrrev_i32_e32 v26, 31, v25
	v_lshlrev_b64 v[25:26], 1, v[25:26]
	s_delay_alu instid0(VALU_DEP_1) | instskip(NEXT) | instid1(VALU_DEP_1)
	v_add_co_u32 v25, s0, s28, v25
	v_add_co_ci_u32_e64 v26, s0, s29, v26, s0
	s_delay_alu instid0(VALU_DEP_2) | instskip(NEXT) | instid1(VALU_DEP_1)
	v_add_co_u32 v25, s0, v25, v42
	v_add_co_ci_u32_e64 v26, s0, v26, v43, s0
	global_load_b32 v36, v[25:26], off
	s_branch .LBB13_122
.LBB13_121:                             ;   in Loop: Header=BB13_122 Depth=1
	s_or_b32 exec_lo, exec_lo, s5
	v_lshrrev_b32_e32 v35, 16, v35
	s_delay_alu instid0(VALU_DEP_1) | instskip(SKIP_4) | instid1(VALU_DEP_2)
	v_and_or_b32 v35, 0xffff0000, v42, v35
	global_atomic_cmpswap_b32 v35, v[25:26], v[35:36], off glc
	s_waitcnt vmcnt(0)
	v_cmp_eq_u32_e64 s0, v35, v36
	v_mov_b32_e32 v36, v35
	s_or_b32 s1, s0, s1
	s_delay_alu instid0(SALU_CYCLE_1)
	s_and_not1_b32 exec_lo, exec_lo, s1
	s_cbranch_execz .LBB13_130
.LBB13_122:                             ; =>This Inner Loop Header: Depth=1
	s_waitcnt vmcnt(0)
	v_lshlrev_b32_e32 v35, 16, v36
	s_delay_alu instid0(VALU_DEP_1) | instskip(NEXT) | instid1(VALU_DEP_1)
	v_add_f32_e32 v38, v27, v35
	v_and_b32_e32 v35, 0x7f800000, v38
	s_delay_alu instid0(VALU_DEP_1) | instskip(NEXT) | instid1(VALU_DEP_1)
	v_cmp_ne_u32_e64 s0, 0x7f800000, v35
                                        ; implicit-def: $vgpr35
	s_and_saveexec_b32 s5, s0
	s_delay_alu instid0(SALU_CYCLE_1)
	s_xor_b32 s0, exec_lo, s5
; %bb.123:                              ;   in Loop: Header=BB13_122 Depth=1
	v_bfe_u32 v35, v38, 16, 1
	s_delay_alu instid0(VALU_DEP_1)
	v_add3_u32 v35, v38, v35, 0x7fff
                                        ; implicit-def: $vgpr38
; %bb.124:                              ;   in Loop: Header=BB13_122 Depth=1
	s_and_not1_saveexec_b32 s5, s0
; %bb.125:                              ;   in Loop: Header=BB13_122 Depth=1
	v_and_b32_e32 v35, 0xffff, v38
	v_or_b32_e32 v42, 0x10000, v38
	s_delay_alu instid0(VALU_DEP_2) | instskip(NEXT) | instid1(VALU_DEP_1)
	v_cmp_eq_u32_e64 s0, 0, v35
	v_cndmask_b32_e64 v35, v42, v38, s0
; %bb.126:                              ;   in Loop: Header=BB13_122 Depth=1
	s_or_b32 exec_lo, exec_lo, s5
	v_and_b32_e32 v38, 0xffff0000, v36
	s_delay_alu instid0(VALU_DEP_1) | instskip(NEXT) | instid1(VALU_DEP_1)
	v_add_f32_e32 v38, v37, v38
	v_and_b32_e32 v42, 0x7f800000, v38
	s_delay_alu instid0(VALU_DEP_1) | instskip(NEXT) | instid1(VALU_DEP_1)
	v_cmp_ne_u32_e64 s0, 0x7f800000, v42
                                        ; implicit-def: $vgpr42
	s_and_saveexec_b32 s5, s0
	s_delay_alu instid0(SALU_CYCLE_1)
	s_xor_b32 s0, exec_lo, s5
; %bb.127:                              ;   in Loop: Header=BB13_122 Depth=1
	v_bfe_u32 v42, v38, 16, 1
	s_delay_alu instid0(VALU_DEP_1)
	v_add3_u32 v42, v38, v42, 0x7fff
                                        ; implicit-def: $vgpr38
; %bb.128:                              ;   in Loop: Header=BB13_122 Depth=1
	s_and_not1_saveexec_b32 s5, s0
	s_cbranch_execz .LBB13_121
; %bb.129:                              ;   in Loop: Header=BB13_122 Depth=1
	v_and_b32_e32 v42, 0xffff, v38
	v_or_b32_e32 v43, 0x10000, v38
	s_delay_alu instid0(VALU_DEP_2) | instskip(NEXT) | instid1(VALU_DEP_1)
	v_cmp_eq_u32_e64 s0, 0, v42
	v_cndmask_b32_e64 v42, v43, v38, s0
	s_branch .LBB13_121
.LBB13_130:
	s_or_b32 exec_lo, exec_lo, s4
	s_waitcnt lgkmcnt(0)
	ds_bpermute_b32 v26, v41, v28
	s_and_saveexec_b32 s4, vcc_lo
	s_cbranch_execz .LBB13_150
; %bb.131:
	v_or3_b32 v25, v46, v39, 6
	v_cmp_gt_i32_e64 s1, s21, v33
	s_delay_alu instid0(VALU_DEP_2) | instskip(NEXT) | instid1(VALU_DEP_1)
	v_cmp_gt_i32_e64 s0, s20, v25
	s_and_b32 s0, s0, s1
	s_delay_alu instid0(SALU_CYCLE_1)
	s_and_b32 exec_lo, exec_lo, s0
	s_cbranch_execz .LBB13_150
; %bb.132:
	v_and_b32_e32 v27, 0x7f800000, v28
	s_delay_alu instid0(VALU_DEP_1) | instskip(NEXT) | instid1(VALU_DEP_1)
	v_cmp_ne_u32_e64 s0, 0x7f800000, v27
                                        ; implicit-def: $vgpr27
	s_and_saveexec_b32 s1, s0
	s_delay_alu instid0(SALU_CYCLE_1)
	s_xor_b32 s0, exec_lo, s1
; %bb.133:
	v_bfe_u32 v27, v28, 16, 1
	s_delay_alu instid0(VALU_DEP_1)
	v_add3_u32 v27, v28, v27, 0x7fff
; %bb.134:
	s_and_not1_saveexec_b32 s1, s0
; %bb.135:
	v_and_b32_e32 v27, 0xffff, v28
	v_or_b32_e32 v35, 0x10000, v28
	s_delay_alu instid0(VALU_DEP_2) | instskip(NEXT) | instid1(VALU_DEP_1)
	v_cmp_eq_u32_e64 s0, 0, v27
	v_cndmask_b32_e64 v27, v35, v28, s0
; %bb.136:
	s_or_b32 exec_lo, exec_lo, s1
	s_waitcnt lgkmcnt(0)
	v_and_b32_e32 v28, 0x7f800000, v26
                                        ; implicit-def: $vgpr36
	s_delay_alu instid0(VALU_DEP_1) | instskip(NEXT) | instid1(VALU_DEP_1)
	v_cmp_ne_u32_e64 s0, 0x7f800000, v28
	s_and_saveexec_b32 s1, s0
	s_delay_alu instid0(SALU_CYCLE_1)
	s_xor_b32 s0, exec_lo, s1
; %bb.137:
	v_bfe_u32 v28, v26, 16, 1
	s_delay_alu instid0(VALU_DEP_1)
	v_add3_u32 v36, v26, v28, 0x7fff
                                        ; implicit-def: $vgpr26
; %bb.138:
	s_and_not1_saveexec_b32 s1, s0
; %bb.139:
	v_and_b32_e32 v28, 0xffff, v26
	v_or_b32_e32 v35, 0x10000, v26
	s_delay_alu instid0(VALU_DEP_2) | instskip(NEXT) | instid1(VALU_DEP_1)
	v_cmp_eq_u32_e64 s0, 0, v28
	v_cndmask_b32_e64 v36, v35, v26, s0
; %bb.140:
	s_or_b32 exec_lo, exec_lo, s1
	v_mul_lo_u32 v25, v25, s21
	v_lshlrev_b64 v[37:38], 1, v[33:34]
	v_and_b32_e32 v35, 0xffff0000, v27
	v_and_b32_e32 v36, 0xffff0000, v36
	s_mov_b32 s1, 0
	s_delay_alu instid0(VALU_DEP_4) | instskip(NEXT) | instid1(VALU_DEP_1)
	v_ashrrev_i32_e32 v26, 31, v25
	v_lshlrev_b64 v[25:26], 1, v[25:26]
	s_delay_alu instid0(VALU_DEP_1) | instskip(NEXT) | instid1(VALU_DEP_1)
	v_add_co_u32 v25, s0, s28, v25
	v_add_co_ci_u32_e64 v26, s0, s29, v26, s0
	s_delay_alu instid0(VALU_DEP_2) | instskip(NEXT) | instid1(VALU_DEP_1)
	v_add_co_u32 v25, s0, v25, v37
	v_add_co_ci_u32_e64 v26, s0, v26, v38, s0
	global_load_b32 v28, v[25:26], off
	s_branch .LBB13_142
.LBB13_141:                             ;   in Loop: Header=BB13_142 Depth=1
	s_or_b32 exec_lo, exec_lo, s5
	v_lshrrev_b32_e32 v27, 16, v27
	s_delay_alu instid0(VALU_DEP_1) | instskip(SKIP_4) | instid1(VALU_DEP_2)
	v_and_or_b32 v27, 0xffff0000, v38, v27
	global_atomic_cmpswap_b32 v27, v[25:26], v[27:28], off glc
	s_waitcnt vmcnt(0)
	v_cmp_eq_u32_e64 s0, v27, v28
	v_mov_b32_e32 v28, v27
	s_or_b32 s1, s0, s1
	s_delay_alu instid0(SALU_CYCLE_1)
	s_and_not1_b32 exec_lo, exec_lo, s1
	s_cbranch_execz .LBB13_150
.LBB13_142:                             ; =>This Inner Loop Header: Depth=1
	s_waitcnt vmcnt(0)
	v_lshlrev_b32_e32 v27, 16, v28
	s_delay_alu instid0(VALU_DEP_1) | instskip(NEXT) | instid1(VALU_DEP_1)
	v_add_f32_e32 v37, v35, v27
	v_and_b32_e32 v27, 0x7f800000, v37
	s_delay_alu instid0(VALU_DEP_1) | instskip(NEXT) | instid1(VALU_DEP_1)
	v_cmp_ne_u32_e64 s0, 0x7f800000, v27
                                        ; implicit-def: $vgpr27
	s_and_saveexec_b32 s5, s0
	s_delay_alu instid0(SALU_CYCLE_1)
	s_xor_b32 s0, exec_lo, s5
; %bb.143:                              ;   in Loop: Header=BB13_142 Depth=1
	v_bfe_u32 v27, v37, 16, 1
	s_delay_alu instid0(VALU_DEP_1)
	v_add3_u32 v27, v37, v27, 0x7fff
                                        ; implicit-def: $vgpr37
; %bb.144:                              ;   in Loop: Header=BB13_142 Depth=1
	s_and_not1_saveexec_b32 s5, s0
; %bb.145:                              ;   in Loop: Header=BB13_142 Depth=1
	v_and_b32_e32 v27, 0xffff, v37
	v_or_b32_e32 v38, 0x10000, v37
	s_delay_alu instid0(VALU_DEP_2) | instskip(NEXT) | instid1(VALU_DEP_1)
	v_cmp_eq_u32_e64 s0, 0, v27
	v_cndmask_b32_e64 v27, v38, v37, s0
; %bb.146:                              ;   in Loop: Header=BB13_142 Depth=1
	s_or_b32 exec_lo, exec_lo, s5
	v_and_b32_e32 v37, 0xffff0000, v28
	s_delay_alu instid0(VALU_DEP_1) | instskip(NEXT) | instid1(VALU_DEP_1)
	v_add_f32_e32 v37, v36, v37
	v_and_b32_e32 v38, 0x7f800000, v37
	s_delay_alu instid0(VALU_DEP_1) | instskip(NEXT) | instid1(VALU_DEP_1)
	v_cmp_ne_u32_e64 s0, 0x7f800000, v38
                                        ; implicit-def: $vgpr38
	s_and_saveexec_b32 s5, s0
	s_delay_alu instid0(SALU_CYCLE_1)
	s_xor_b32 s0, exec_lo, s5
; %bb.147:                              ;   in Loop: Header=BB13_142 Depth=1
	v_bfe_u32 v38, v37, 16, 1
	s_delay_alu instid0(VALU_DEP_1)
	v_add3_u32 v38, v37, v38, 0x7fff
                                        ; implicit-def: $vgpr37
; %bb.148:                              ;   in Loop: Header=BB13_142 Depth=1
	s_and_not1_saveexec_b32 s5, s0
	s_cbranch_execz .LBB13_141
; %bb.149:                              ;   in Loop: Header=BB13_142 Depth=1
	v_and_b32_e32 v38, 0xffff, v37
	v_or_b32_e32 v42, 0x10000, v37
	s_delay_alu instid0(VALU_DEP_2) | instskip(NEXT) | instid1(VALU_DEP_1)
	v_cmp_eq_u32_e64 s0, 0, v38
	v_cndmask_b32_e64 v38, v42, v37, s0
	s_branch .LBB13_141
.LBB13_150:
	s_or_b32 exec_lo, exec_lo, s4
	s_waitcnt lgkmcnt(0)
	ds_bpermute_b32 v26, v41, v29
	s_and_saveexec_b32 s4, vcc_lo
	s_cbranch_execz .LBB13_170
; %bb.151:
	v_or3_b32 v25, v46, v39, 8
	v_cmp_gt_i32_e64 s1, s21, v33
	s_delay_alu instid0(VALU_DEP_2) | instskip(NEXT) | instid1(VALU_DEP_1)
	v_cmp_gt_i32_e64 s0, s20, v25
	s_and_b32 s0, s0, s1
	s_delay_alu instid0(SALU_CYCLE_1)
	s_and_b32 exec_lo, exec_lo, s0
	s_cbranch_execz .LBB13_170
; %bb.152:
	v_and_b32_e32 v27, 0x7f800000, v29
	s_delay_alu instid0(VALU_DEP_1) | instskip(NEXT) | instid1(VALU_DEP_1)
	v_cmp_ne_u32_e64 s0, 0x7f800000, v27
                                        ; implicit-def: $vgpr27
	s_and_saveexec_b32 s1, s0
	s_delay_alu instid0(SALU_CYCLE_1)
	s_xor_b32 s0, exec_lo, s1
; %bb.153:
	v_bfe_u32 v27, v29, 16, 1
	s_delay_alu instid0(VALU_DEP_1)
	v_add3_u32 v27, v29, v27, 0x7fff
; %bb.154:
	s_and_not1_saveexec_b32 s1, s0
; %bb.155:
	v_and_b32_e32 v27, 0xffff, v29
	v_or_b32_e32 v28, 0x10000, v29
	s_delay_alu instid0(VALU_DEP_2) | instskip(NEXT) | instid1(VALU_DEP_1)
	v_cmp_eq_u32_e64 s0, 0, v27
	v_cndmask_b32_e64 v27, v28, v29, s0
; %bb.156:
	s_or_b32 exec_lo, exec_lo, s1
	s_waitcnt lgkmcnt(0)
	v_and_b32_e32 v28, 0x7f800000, v26
                                        ; implicit-def: $vgpr35
	s_delay_alu instid0(VALU_DEP_1) | instskip(NEXT) | instid1(VALU_DEP_1)
	v_cmp_ne_u32_e64 s0, 0x7f800000, v28
	s_and_saveexec_b32 s1, s0
	s_delay_alu instid0(SALU_CYCLE_1)
	s_xor_b32 s0, exec_lo, s1
; %bb.157:
	v_bfe_u32 v28, v26, 16, 1
	s_delay_alu instid0(VALU_DEP_1)
	v_add3_u32 v35, v26, v28, 0x7fff
                                        ; implicit-def: $vgpr26
; %bb.158:
	s_and_not1_saveexec_b32 s1, s0
; %bb.159:
	v_and_b32_e32 v28, 0xffff, v26
	v_or_b32_e32 v29, 0x10000, v26
	s_delay_alu instid0(VALU_DEP_2) | instskip(NEXT) | instid1(VALU_DEP_1)
	v_cmp_eq_u32_e64 s0, 0, v28
	v_cndmask_b32_e64 v35, v29, v26, s0
; %bb.160:
	s_or_b32 exec_lo, exec_lo, s1
	v_mul_lo_u32 v25, v25, s21
	v_lshlrev_b64 v[28:29], 1, v[33:34]
	s_delay_alu instid0(VALU_DEP_3) | instskip(SKIP_1) | instid1(VALU_DEP_3)
	v_and_b32_e32 v35, 0xffff0000, v35
	s_mov_b32 s1, 0
	v_ashrrev_i32_e32 v26, 31, v25
	s_delay_alu instid0(VALU_DEP_1) | instskip(NEXT) | instid1(VALU_DEP_1)
	v_lshlrev_b64 v[25:26], 1, v[25:26]
	v_add_co_u32 v25, s0, s28, v25
	s_delay_alu instid0(VALU_DEP_1) | instskip(NEXT) | instid1(VALU_DEP_2)
	v_add_co_ci_u32_e64 v26, s0, s29, v26, s0
	v_add_co_u32 v25, s0, v25, v28
	s_delay_alu instid0(VALU_DEP_1)
	v_add_co_ci_u32_e64 v26, s0, v26, v29, s0
	v_and_b32_e32 v29, 0xffff0000, v27
	global_load_b32 v28, v[25:26], off
	s_branch .LBB13_162
.LBB13_161:                             ;   in Loop: Header=BB13_162 Depth=1
	s_or_b32 exec_lo, exec_lo, s5
	v_lshrrev_b32_e32 v27, 16, v27
	s_delay_alu instid0(VALU_DEP_1) | instskip(SKIP_4) | instid1(VALU_DEP_2)
	v_and_or_b32 v27, 0xffff0000, v37, v27
	global_atomic_cmpswap_b32 v27, v[25:26], v[27:28], off glc
	s_waitcnt vmcnt(0)
	v_cmp_eq_u32_e64 s0, v27, v28
	v_mov_b32_e32 v28, v27
	s_or_b32 s1, s0, s1
	s_delay_alu instid0(SALU_CYCLE_1)
	s_and_not1_b32 exec_lo, exec_lo, s1
	s_cbranch_execz .LBB13_170
.LBB13_162:                             ; =>This Inner Loop Header: Depth=1
	s_waitcnt vmcnt(0)
	v_lshlrev_b32_e32 v27, 16, v28
	s_delay_alu instid0(VALU_DEP_1) | instskip(NEXT) | instid1(VALU_DEP_1)
	v_add_f32_e32 v36, v29, v27
	v_and_b32_e32 v27, 0x7f800000, v36
	s_delay_alu instid0(VALU_DEP_1) | instskip(NEXT) | instid1(VALU_DEP_1)
	v_cmp_ne_u32_e64 s0, 0x7f800000, v27
                                        ; implicit-def: $vgpr27
	s_and_saveexec_b32 s5, s0
	s_delay_alu instid0(SALU_CYCLE_1)
	s_xor_b32 s0, exec_lo, s5
; %bb.163:                              ;   in Loop: Header=BB13_162 Depth=1
	v_bfe_u32 v27, v36, 16, 1
	s_delay_alu instid0(VALU_DEP_1)
	v_add3_u32 v27, v36, v27, 0x7fff
                                        ; implicit-def: $vgpr36
; %bb.164:                              ;   in Loop: Header=BB13_162 Depth=1
	s_and_not1_saveexec_b32 s5, s0
; %bb.165:                              ;   in Loop: Header=BB13_162 Depth=1
	v_and_b32_e32 v27, 0xffff, v36
	v_or_b32_e32 v37, 0x10000, v36
	s_delay_alu instid0(VALU_DEP_2) | instskip(NEXT) | instid1(VALU_DEP_1)
	v_cmp_eq_u32_e64 s0, 0, v27
	v_cndmask_b32_e64 v27, v37, v36, s0
; %bb.166:                              ;   in Loop: Header=BB13_162 Depth=1
	s_or_b32 exec_lo, exec_lo, s5
	v_and_b32_e32 v36, 0xffff0000, v28
	s_delay_alu instid0(VALU_DEP_1) | instskip(NEXT) | instid1(VALU_DEP_1)
	v_add_f32_e32 v36, v35, v36
	v_and_b32_e32 v37, 0x7f800000, v36
	s_delay_alu instid0(VALU_DEP_1) | instskip(NEXT) | instid1(VALU_DEP_1)
	v_cmp_ne_u32_e64 s0, 0x7f800000, v37
                                        ; implicit-def: $vgpr37
	s_and_saveexec_b32 s5, s0
	s_delay_alu instid0(SALU_CYCLE_1)
	s_xor_b32 s0, exec_lo, s5
; %bb.167:                              ;   in Loop: Header=BB13_162 Depth=1
	v_bfe_u32 v37, v36, 16, 1
	s_delay_alu instid0(VALU_DEP_1)
	v_add3_u32 v37, v36, v37, 0x7fff
                                        ; implicit-def: $vgpr36
; %bb.168:                              ;   in Loop: Header=BB13_162 Depth=1
	s_and_not1_saveexec_b32 s5, s0
	s_cbranch_execz .LBB13_161
; %bb.169:                              ;   in Loop: Header=BB13_162 Depth=1
	v_and_b32_e32 v37, 0xffff, v36
	v_or_b32_e32 v38, 0x10000, v36
	s_delay_alu instid0(VALU_DEP_2) | instskip(NEXT) | instid1(VALU_DEP_1)
	v_cmp_eq_u32_e64 s0, 0, v37
	v_cndmask_b32_e64 v37, v38, v36, s0
	s_branch .LBB13_161
.LBB13_170:
	s_or_b32 exec_lo, exec_lo, s4
	s_waitcnt lgkmcnt(0)
	ds_bpermute_b32 v26, v41, v30
	s_and_saveexec_b32 s4, vcc_lo
	s_cbranch_execz .LBB13_190
; %bb.171:
	v_or3_b32 v25, v46, v39, 10
	v_cmp_gt_i32_e64 s1, s21, v33
	s_delay_alu instid0(VALU_DEP_2) | instskip(NEXT) | instid1(VALU_DEP_1)
	v_cmp_gt_i32_e64 s0, s20, v25
	s_and_b32 s0, s0, s1
	s_delay_alu instid0(SALU_CYCLE_1)
	s_and_b32 exec_lo, exec_lo, s0
	s_cbranch_execz .LBB13_190
; %bb.172:
	v_and_b32_e32 v27, 0x7f800000, v30
	s_delay_alu instid0(VALU_DEP_1) | instskip(NEXT) | instid1(VALU_DEP_1)
	v_cmp_ne_u32_e64 s0, 0x7f800000, v27
                                        ; implicit-def: $vgpr27
	s_and_saveexec_b32 s1, s0
	s_delay_alu instid0(SALU_CYCLE_1)
	s_xor_b32 s0, exec_lo, s1
; %bb.173:
	v_bfe_u32 v27, v30, 16, 1
	s_delay_alu instid0(VALU_DEP_1)
	v_add3_u32 v27, v30, v27, 0x7fff
; %bb.174:
	s_and_not1_saveexec_b32 s1, s0
; %bb.175:
	v_and_b32_e32 v27, 0xffff, v30
	v_or_b32_e32 v28, 0x10000, v30
	s_delay_alu instid0(VALU_DEP_2) | instskip(NEXT) | instid1(VALU_DEP_1)
	v_cmp_eq_u32_e64 s0, 0, v27
	v_cndmask_b32_e64 v27, v28, v30, s0
; %bb.176:
	s_or_b32 exec_lo, exec_lo, s1
	s_waitcnt lgkmcnt(0)
	v_and_b32_e32 v28, 0x7f800000, v26
                                        ; implicit-def: $vgpr30
	s_delay_alu instid0(VALU_DEP_1) | instskip(NEXT) | instid1(VALU_DEP_1)
	v_cmp_ne_u32_e64 s0, 0x7f800000, v28
	s_and_saveexec_b32 s1, s0
	s_delay_alu instid0(SALU_CYCLE_1)
	s_xor_b32 s0, exec_lo, s1
; %bb.177:
	v_bfe_u32 v28, v26, 16, 1
	s_delay_alu instid0(VALU_DEP_1)
	v_add3_u32 v30, v26, v28, 0x7fff
                                        ; implicit-def: $vgpr26
; %bb.178:
	s_and_not1_saveexec_b32 s1, s0
; %bb.179:
	v_and_b32_e32 v28, 0xffff, v26
	v_or_b32_e32 v29, 0x10000, v26
	s_delay_alu instid0(VALU_DEP_2) | instskip(NEXT) | instid1(VALU_DEP_1)
	v_cmp_eq_u32_e64 s0, 0, v28
	v_cndmask_b32_e64 v30, v29, v26, s0
; %bb.180:
	s_or_b32 exec_lo, exec_lo, s1
	v_mul_lo_u32 v25, v25, s21
	v_lshlrev_b64 v[28:29], 1, v[33:34]
	s_delay_alu instid0(VALU_DEP_3) | instskip(SKIP_1) | instid1(VALU_DEP_3)
	v_and_b32_e32 v30, 0xffff0000, v30
	s_mov_b32 s1, 0
	v_ashrrev_i32_e32 v26, 31, v25
	s_delay_alu instid0(VALU_DEP_1) | instskip(NEXT) | instid1(VALU_DEP_1)
	v_lshlrev_b64 v[25:26], 1, v[25:26]
	v_add_co_u32 v25, s0, s28, v25
	s_delay_alu instid0(VALU_DEP_1) | instskip(NEXT) | instid1(VALU_DEP_2)
	v_add_co_ci_u32_e64 v26, s0, s29, v26, s0
	v_add_co_u32 v25, s0, v25, v28
	s_delay_alu instid0(VALU_DEP_1)
	v_add_co_ci_u32_e64 v26, s0, v26, v29, s0
	v_and_b32_e32 v29, 0xffff0000, v27
	global_load_b32 v28, v[25:26], off
	s_branch .LBB13_182
.LBB13_181:                             ;   in Loop: Header=BB13_182 Depth=1
	s_or_b32 exec_lo, exec_lo, s5
	v_lshrrev_b32_e32 v27, 16, v27
	s_delay_alu instid0(VALU_DEP_1) | instskip(SKIP_4) | instid1(VALU_DEP_2)
	v_and_or_b32 v27, 0xffff0000, v36, v27
	global_atomic_cmpswap_b32 v27, v[25:26], v[27:28], off glc
	s_waitcnt vmcnt(0)
	v_cmp_eq_u32_e64 s0, v27, v28
	v_mov_b32_e32 v28, v27
	s_or_b32 s1, s0, s1
	s_delay_alu instid0(SALU_CYCLE_1)
	s_and_not1_b32 exec_lo, exec_lo, s1
	s_cbranch_execz .LBB13_190
.LBB13_182:                             ; =>This Inner Loop Header: Depth=1
	s_waitcnt vmcnt(0)
	v_lshlrev_b32_e32 v27, 16, v28
	s_delay_alu instid0(VALU_DEP_1) | instskip(NEXT) | instid1(VALU_DEP_1)
	v_add_f32_e32 v35, v29, v27
	v_and_b32_e32 v27, 0x7f800000, v35
	s_delay_alu instid0(VALU_DEP_1) | instskip(NEXT) | instid1(VALU_DEP_1)
	v_cmp_ne_u32_e64 s0, 0x7f800000, v27
                                        ; implicit-def: $vgpr27
	s_and_saveexec_b32 s5, s0
	s_delay_alu instid0(SALU_CYCLE_1)
	s_xor_b32 s0, exec_lo, s5
; %bb.183:                              ;   in Loop: Header=BB13_182 Depth=1
	v_bfe_u32 v27, v35, 16, 1
	s_delay_alu instid0(VALU_DEP_1)
	v_add3_u32 v27, v35, v27, 0x7fff
                                        ; implicit-def: $vgpr35
; %bb.184:                              ;   in Loop: Header=BB13_182 Depth=1
	s_and_not1_saveexec_b32 s5, s0
; %bb.185:                              ;   in Loop: Header=BB13_182 Depth=1
	v_and_b32_e32 v27, 0xffff, v35
	v_or_b32_e32 v36, 0x10000, v35
	s_delay_alu instid0(VALU_DEP_2) | instskip(NEXT) | instid1(VALU_DEP_1)
	v_cmp_eq_u32_e64 s0, 0, v27
	v_cndmask_b32_e64 v27, v36, v35, s0
; %bb.186:                              ;   in Loop: Header=BB13_182 Depth=1
	s_or_b32 exec_lo, exec_lo, s5
	v_and_b32_e32 v35, 0xffff0000, v28
	s_delay_alu instid0(VALU_DEP_1) | instskip(NEXT) | instid1(VALU_DEP_1)
	v_add_f32_e32 v35, v30, v35
	v_and_b32_e32 v36, 0x7f800000, v35
	s_delay_alu instid0(VALU_DEP_1) | instskip(NEXT) | instid1(VALU_DEP_1)
	v_cmp_ne_u32_e64 s0, 0x7f800000, v36
                                        ; implicit-def: $vgpr36
	s_and_saveexec_b32 s5, s0
	s_delay_alu instid0(SALU_CYCLE_1)
	s_xor_b32 s0, exec_lo, s5
; %bb.187:                              ;   in Loop: Header=BB13_182 Depth=1
	v_bfe_u32 v36, v35, 16, 1
	s_delay_alu instid0(VALU_DEP_1)
	v_add3_u32 v36, v35, v36, 0x7fff
                                        ; implicit-def: $vgpr35
; %bb.188:                              ;   in Loop: Header=BB13_182 Depth=1
	s_and_not1_saveexec_b32 s5, s0
	s_cbranch_execz .LBB13_181
; %bb.189:                              ;   in Loop: Header=BB13_182 Depth=1
	v_and_b32_e32 v36, 0xffff, v35
	v_or_b32_e32 v37, 0x10000, v35
	s_delay_alu instid0(VALU_DEP_2) | instskip(NEXT) | instid1(VALU_DEP_1)
	v_cmp_eq_u32_e64 s0, 0, v36
	v_cndmask_b32_e64 v36, v37, v35, s0
	s_branch .LBB13_181
.LBB13_190:
	s_or_b32 exec_lo, exec_lo, s4
	s_waitcnt lgkmcnt(0)
	ds_bpermute_b32 v26, v41, v31
	s_and_saveexec_b32 s4, vcc_lo
	s_cbranch_execz .LBB13_210
; %bb.191:
	v_or3_b32 v25, v46, v39, 12
	v_cmp_gt_i32_e64 s1, s21, v33
	s_delay_alu instid0(VALU_DEP_2) | instskip(NEXT) | instid1(VALU_DEP_1)
	v_cmp_gt_i32_e64 s0, s20, v25
	s_and_b32 s0, s0, s1
	s_delay_alu instid0(SALU_CYCLE_1)
	s_and_b32 exec_lo, exec_lo, s0
	s_cbranch_execz .LBB13_210
; %bb.192:
	v_and_b32_e32 v27, 0x7f800000, v31
	s_delay_alu instid0(VALU_DEP_1) | instskip(NEXT) | instid1(VALU_DEP_1)
	v_cmp_ne_u32_e64 s0, 0x7f800000, v27
                                        ; implicit-def: $vgpr27
	s_and_saveexec_b32 s1, s0
	s_delay_alu instid0(SALU_CYCLE_1)
	s_xor_b32 s0, exec_lo, s1
; %bb.193:
	v_bfe_u32 v27, v31, 16, 1
	s_delay_alu instid0(VALU_DEP_1)
	v_add3_u32 v27, v31, v27, 0x7fff
; %bb.194:
	s_and_not1_saveexec_b32 s1, s0
; %bb.195:
	v_and_b32_e32 v27, 0xffff, v31
	v_or_b32_e32 v28, 0x10000, v31
	s_delay_alu instid0(VALU_DEP_2) | instskip(NEXT) | instid1(VALU_DEP_1)
	v_cmp_eq_u32_e64 s0, 0, v27
	v_cndmask_b32_e64 v27, v28, v31, s0
; %bb.196:
	s_or_b32 exec_lo, exec_lo, s1
	s_waitcnt lgkmcnt(0)
	v_and_b32_e32 v28, 0x7f800000, v26
                                        ; implicit-def: $vgpr30
	s_delay_alu instid0(VALU_DEP_1) | instskip(NEXT) | instid1(VALU_DEP_1)
	v_cmp_ne_u32_e64 s0, 0x7f800000, v28
	s_and_saveexec_b32 s1, s0
	s_delay_alu instid0(SALU_CYCLE_1)
	s_xor_b32 s0, exec_lo, s1
; %bb.197:
	v_bfe_u32 v28, v26, 16, 1
	s_delay_alu instid0(VALU_DEP_1)
	v_add3_u32 v30, v26, v28, 0x7fff
                                        ; implicit-def: $vgpr26
; %bb.198:
	s_and_not1_saveexec_b32 s1, s0
; %bb.199:
	v_and_b32_e32 v28, 0xffff, v26
	v_or_b32_e32 v29, 0x10000, v26
	s_delay_alu instid0(VALU_DEP_2) | instskip(NEXT) | instid1(VALU_DEP_1)
	v_cmp_eq_u32_e64 s0, 0, v28
	v_cndmask_b32_e64 v30, v29, v26, s0
; %bb.200:
	s_or_b32 exec_lo, exec_lo, s1
	v_mul_lo_u32 v25, v25, s21
	v_lshlrev_b64 v[28:29], 1, v[33:34]
	s_delay_alu instid0(VALU_DEP_3) | instskip(SKIP_1) | instid1(VALU_DEP_3)
	v_and_b32_e32 v30, 0xffff0000, v30
	s_mov_b32 s1, 0
	v_ashrrev_i32_e32 v26, 31, v25
	s_delay_alu instid0(VALU_DEP_1) | instskip(NEXT) | instid1(VALU_DEP_1)
	v_lshlrev_b64 v[25:26], 1, v[25:26]
	v_add_co_u32 v25, s0, s28, v25
	s_delay_alu instid0(VALU_DEP_1) | instskip(NEXT) | instid1(VALU_DEP_2)
	v_add_co_ci_u32_e64 v26, s0, s29, v26, s0
	v_add_co_u32 v25, s0, v25, v28
	s_delay_alu instid0(VALU_DEP_1)
	v_add_co_ci_u32_e64 v26, s0, v26, v29, s0
	v_and_b32_e32 v29, 0xffff0000, v27
	global_load_b32 v28, v[25:26], off
	s_branch .LBB13_202
.LBB13_201:                             ;   in Loop: Header=BB13_202 Depth=1
	s_or_b32 exec_lo, exec_lo, s5
	v_lshrrev_b32_e32 v27, 16, v27
	s_delay_alu instid0(VALU_DEP_1) | instskip(SKIP_4) | instid1(VALU_DEP_2)
	v_and_or_b32 v27, 0xffff0000, v35, v27
	global_atomic_cmpswap_b32 v27, v[25:26], v[27:28], off glc
	s_waitcnt vmcnt(0)
	v_cmp_eq_u32_e64 s0, v27, v28
	v_mov_b32_e32 v28, v27
	s_or_b32 s1, s0, s1
	s_delay_alu instid0(SALU_CYCLE_1)
	s_and_not1_b32 exec_lo, exec_lo, s1
	s_cbranch_execz .LBB13_210
.LBB13_202:                             ; =>This Inner Loop Header: Depth=1
	s_waitcnt vmcnt(0)
	v_lshlrev_b32_e32 v27, 16, v28
	s_delay_alu instid0(VALU_DEP_1) | instskip(NEXT) | instid1(VALU_DEP_1)
	v_add_f32_e32 v31, v29, v27
	v_and_b32_e32 v27, 0x7f800000, v31
	s_delay_alu instid0(VALU_DEP_1) | instskip(NEXT) | instid1(VALU_DEP_1)
	v_cmp_ne_u32_e64 s0, 0x7f800000, v27
                                        ; implicit-def: $vgpr27
	s_and_saveexec_b32 s5, s0
	s_delay_alu instid0(SALU_CYCLE_1)
	s_xor_b32 s0, exec_lo, s5
; %bb.203:                              ;   in Loop: Header=BB13_202 Depth=1
	v_bfe_u32 v27, v31, 16, 1
	s_delay_alu instid0(VALU_DEP_1)
	v_add3_u32 v27, v31, v27, 0x7fff
                                        ; implicit-def: $vgpr31
; %bb.204:                              ;   in Loop: Header=BB13_202 Depth=1
	s_and_not1_saveexec_b32 s5, s0
; %bb.205:                              ;   in Loop: Header=BB13_202 Depth=1
	v_and_b32_e32 v27, 0xffff, v31
	v_or_b32_e32 v35, 0x10000, v31
	s_delay_alu instid0(VALU_DEP_2) | instskip(NEXT) | instid1(VALU_DEP_1)
	v_cmp_eq_u32_e64 s0, 0, v27
	v_cndmask_b32_e64 v27, v35, v31, s0
; %bb.206:                              ;   in Loop: Header=BB13_202 Depth=1
	s_or_b32 exec_lo, exec_lo, s5
	v_and_b32_e32 v31, 0xffff0000, v28
	s_delay_alu instid0(VALU_DEP_1) | instskip(NEXT) | instid1(VALU_DEP_1)
	v_add_f32_e32 v31, v30, v31
	v_and_b32_e32 v35, 0x7f800000, v31
	s_delay_alu instid0(VALU_DEP_1) | instskip(NEXT) | instid1(VALU_DEP_1)
	v_cmp_ne_u32_e64 s0, 0x7f800000, v35
                                        ; implicit-def: $vgpr35
	s_and_saveexec_b32 s5, s0
	s_delay_alu instid0(SALU_CYCLE_1)
	s_xor_b32 s0, exec_lo, s5
; %bb.207:                              ;   in Loop: Header=BB13_202 Depth=1
	v_bfe_u32 v35, v31, 16, 1
	s_delay_alu instid0(VALU_DEP_1)
	v_add3_u32 v35, v31, v35, 0x7fff
                                        ; implicit-def: $vgpr31
; %bb.208:                              ;   in Loop: Header=BB13_202 Depth=1
	s_and_not1_saveexec_b32 s5, s0
	s_cbranch_execz .LBB13_201
; %bb.209:                              ;   in Loop: Header=BB13_202 Depth=1
	v_and_b32_e32 v35, 0xffff, v31
	v_or_b32_e32 v36, 0x10000, v31
	s_delay_alu instid0(VALU_DEP_2) | instskip(NEXT) | instid1(VALU_DEP_1)
	v_cmp_eq_u32_e64 s0, 0, v35
	v_cndmask_b32_e64 v35, v36, v31, s0
	s_branch .LBB13_201
.LBB13_210:
	s_or_b32 exec_lo, exec_lo, s4
	ds_bpermute_b32 v36, v41, v32
	s_and_saveexec_b32 s1, vcc_lo
	s_cbranch_execz .LBB13_230
; %bb.211:
	v_or3_b32 v35, v46, v39, 14
	v_cmp_gt_i32_e64 s0, s21, v33
	s_delay_alu instid0(VALU_DEP_2) | instskip(NEXT) | instid1(VALU_DEP_2)
	v_cmp_gt_i32_e32 vcc_lo, s20, v35
	s_and_b32 s0, vcc_lo, s0
	s_delay_alu instid0(SALU_CYCLE_1)
	s_and_b32 exec_lo, exec_lo, s0
	s_cbranch_execz .LBB13_230
; %bb.212:
	v_and_b32_e32 v25, 0x7f800000, v32
	s_mov_b32 s0, exec_lo
                                        ; implicit-def: $vgpr37
	s_delay_alu instid0(VALU_DEP_1)
	v_cmpx_ne_u32_e32 0x7f800000, v25
	s_xor_b32 s0, exec_lo, s0
; %bb.213:
	v_bfe_u32 v25, v32, 16, 1
	s_delay_alu instid0(VALU_DEP_1)
	v_add3_u32 v37, v32, v25, 0x7fff
                                        ; implicit-def: $vgpr25_vgpr26_vgpr27_vgpr28_vgpr29_vgpr30_vgpr31_vgpr32
; %bb.214:
	s_and_not1_saveexec_b32 s0, s0
	s_cbranch_execz .LBB13_216
; %bb.215:
	v_and_b32_e32 v25, 0xffff, v32
	s_waitcnt lgkmcnt(1)
	v_or_b32_e32 v26, 0x10000, v32
	s_delay_alu instid0(VALU_DEP_2) | instskip(NEXT) | instid1(VALU_DEP_2)
	v_cmp_eq_u32_e32 vcc_lo, 0, v25
	v_cndmask_b32_e32 v37, v26, v32, vcc_lo
.LBB13_216:
	s_or_b32 exec_lo, exec_lo, s0
	s_waitcnt lgkmcnt(0)
	v_and_b32_e32 v25, 0x7f800000, v36
	s_mov_b32 s0, exec_lo
                                        ; implicit-def: $vgpr27
	s_delay_alu instid0(VALU_DEP_1)
	v_cmpx_ne_u32_e32 0x7f800000, v25
	s_xor_b32 s0, exec_lo, s0
; %bb.217:
	v_bfe_u32 v25, v36, 16, 1
	s_delay_alu instid0(VALU_DEP_1)
	v_add3_u32 v27, v36, v25, 0x7fff
                                        ; implicit-def: $vgpr36
; %bb.218:
	s_and_not1_saveexec_b32 s0, s0
; %bb.219:
	v_and_b32_e32 v25, 0xffff, v36
	v_or_b32_e32 v26, 0x10000, v36
	s_delay_alu instid0(VALU_DEP_2) | instskip(NEXT) | instid1(VALU_DEP_2)
	v_cmp_eq_u32_e32 vcc_lo, 0, v25
	v_cndmask_b32_e32 v27, v26, v36, vcc_lo
; %bb.220:
	s_or_b32 exec_lo, exec_lo, s0
	v_mul_lo_u32 v25, v35, s21
	v_lshlrev_b64 v[28:29], 1, v[33:34]
	s_delay_alu instid0(VALU_DEP_3) | instskip(SKIP_1) | instid1(VALU_DEP_3)
	v_and_b32_e32 v30, 0xffff0000, v27
	s_mov_b32 s0, 0
	v_ashrrev_i32_e32 v26, 31, v25
	s_delay_alu instid0(VALU_DEP_1) | instskip(NEXT) | instid1(VALU_DEP_1)
	v_lshlrev_b64 v[25:26], 1, v[25:26]
	v_add_co_u32 v25, vcc_lo, s28, v25
	s_delay_alu instid0(VALU_DEP_2) | instskip(NEXT) | instid1(VALU_DEP_2)
	v_add_co_ci_u32_e32 v26, vcc_lo, s29, v26, vcc_lo
	v_add_co_u32 v25, vcc_lo, v25, v28
	s_delay_alu instid0(VALU_DEP_2)
	v_add_co_ci_u32_e32 v26, vcc_lo, v26, v29, vcc_lo
	v_and_b32_e32 v29, 0xffff0000, v37
	global_load_b32 v28, v[25:26], off
	s_branch .LBB13_222
.LBB13_221:                             ;   in Loop: Header=BB13_222 Depth=1
	s_or_b32 exec_lo, exec_lo, s4
	v_lshrrev_b32_e32 v27, 16, v27
	s_delay_alu instid0(VALU_DEP_1)
	v_and_or_b32 v27, 0xffff0000, v32, v27
	global_atomic_cmpswap_b32 v27, v[25:26], v[27:28], off glc
	s_waitcnt vmcnt(0)
	v_cmp_eq_u32_e32 vcc_lo, v27, v28
	v_mov_b32_e32 v28, v27
	s_or_b32 s0, vcc_lo, s0
	s_delay_alu instid0(SALU_CYCLE_1)
	s_and_not1_b32 exec_lo, exec_lo, s0
	s_cbranch_execz .LBB13_230
.LBB13_222:                             ; =>This Inner Loop Header: Depth=1
	s_waitcnt vmcnt(0)
	v_lshlrev_b32_e32 v27, 16, v28
	s_delay_alu instid0(VALU_DEP_1) | instskip(NEXT) | instid1(VALU_DEP_1)
	v_add_f32_e32 v31, v29, v27
	v_and_b32_e32 v27, 0x7f800000, v31
	s_delay_alu instid0(VALU_DEP_1) | instskip(SKIP_1) | instid1(SALU_CYCLE_1)
	v_cmp_ne_u32_e32 vcc_lo, 0x7f800000, v27
                                        ; implicit-def: $vgpr27
	s_and_saveexec_b32 s4, vcc_lo
	s_xor_b32 s4, exec_lo, s4
; %bb.223:                              ;   in Loop: Header=BB13_222 Depth=1
	v_bfe_u32 v27, v31, 16, 1
	s_delay_alu instid0(VALU_DEP_1)
	v_add3_u32 v27, v31, v27, 0x7fff
                                        ; implicit-def: $vgpr31
; %bb.224:                              ;   in Loop: Header=BB13_222 Depth=1
	s_and_not1_saveexec_b32 s4, s4
; %bb.225:                              ;   in Loop: Header=BB13_222 Depth=1
	v_and_b32_e32 v27, 0xffff, v31
	v_or_b32_e32 v32, 0x10000, v31
	s_delay_alu instid0(VALU_DEP_2) | instskip(NEXT) | instid1(VALU_DEP_2)
	v_cmp_eq_u32_e32 vcc_lo, 0, v27
	v_cndmask_b32_e32 v27, v32, v31, vcc_lo
; %bb.226:                              ;   in Loop: Header=BB13_222 Depth=1
	s_or_b32 exec_lo, exec_lo, s4
	v_and_b32_e32 v31, 0xffff0000, v28
	s_delay_alu instid0(VALU_DEP_1) | instskip(NEXT) | instid1(VALU_DEP_1)
	v_add_f32_e32 v31, v30, v31
	v_and_b32_e32 v32, 0x7f800000, v31
	s_delay_alu instid0(VALU_DEP_1) | instskip(SKIP_1) | instid1(SALU_CYCLE_1)
	v_cmp_ne_u32_e32 vcc_lo, 0x7f800000, v32
                                        ; implicit-def: $vgpr32
	s_and_saveexec_b32 s4, vcc_lo
	s_xor_b32 s4, exec_lo, s4
; %bb.227:                              ;   in Loop: Header=BB13_222 Depth=1
	v_bfe_u32 v32, v31, 16, 1
	s_delay_alu instid0(VALU_DEP_1)
	v_add3_u32 v32, v31, v32, 0x7fff
                                        ; implicit-def: $vgpr31
; %bb.228:                              ;   in Loop: Header=BB13_222 Depth=1
	s_and_not1_saveexec_b32 s4, s4
	s_cbranch_execz .LBB13_221
; %bb.229:                              ;   in Loop: Header=BB13_222 Depth=1
	v_and_b32_e32 v32, 0xffff, v31
	v_or_b32_e32 v33, 0x10000, v31
	s_delay_alu instid0(VALU_DEP_2) | instskip(NEXT) | instid1(VALU_DEP_2)
	v_cmp_eq_u32_e32 vcc_lo, 0, v32
	v_cndmask_b32_e32 v32, v33, v31, vcc_lo
	s_branch .LBB13_221
.LBB13_230:
	s_or_b32 exec_lo, exec_lo, s1
.LBB13_231:
	s_or_b32 s0, s3, 16
	s_and_b32 vcc_lo, exec_lo, s2
	v_or_b32_e32 v29, s0, v45
	s_mov_b32 s1, -1
	s_delay_alu instid0(VALU_DEP_1)
	v_cmp_gt_i32_e64 s0, s21, v29
	s_cbranch_vccz .LBB13_282
; %bb.232:
	s_delay_alu instid0(VALU_DEP_1)
	s_and_saveexec_b32 s1, s0
	s_cbranch_execz .LBB13_281
; %bb.233:
	v_or_b32_e32 v25, v39, v46
	s_mov_b32 s0, exec_lo
	s_delay_alu instid0(VALU_DEP_1)
	v_cmpx_gt_i32_e64 s20, v25
	s_cbranch_execz .LBB13_239
; %bb.234:
	s_waitcnt lgkmcnt(0)
	v_and_b32_e32 v26, 0x7f800000, v17
	s_delay_alu instid0(VALU_DEP_1) | instskip(SKIP_1) | instid1(SALU_CYCLE_1)
	v_cmp_ne_u32_e32 vcc_lo, 0x7f800000, v26
                                        ; implicit-def: $vgpr26
	s_and_saveexec_b32 s4, vcc_lo
	s_xor_b32 s4, exec_lo, s4
; %bb.235:
	v_bfe_u32 v26, v17, 16, 1
	s_delay_alu instid0(VALU_DEP_1)
	v_add3_u32 v26, v17, v26, 0x7fff
; %bb.236:
	s_and_not1_saveexec_b32 s4, s4
; %bb.237:
	v_and_b32_e32 v26, 0xffff, v17
	v_or_b32_e32 v27, 0x10000, v17
	s_delay_alu instid0(VALU_DEP_2) | instskip(NEXT) | instid1(VALU_DEP_2)
	v_cmp_eq_u32_e32 vcc_lo, 0, v26
	v_cndmask_b32_e32 v26, v27, v17, vcc_lo
; %bb.238:
	s_or_b32 exec_lo, exec_lo, s4
	v_mul_lo_u32 v27, v25, s21
	s_ashr_i32 s4, s3, 31
	v_add_co_u32 v30, s5, s3, v45
	s_delay_alu instid0(VALU_DEP_1) | instskip(NEXT) | instid1(VALU_DEP_3)
	v_add_co_ci_u32_e64 v31, null, s4, 0, s5
	v_ashrrev_i32_e32 v28, 31, v27
	s_delay_alu instid0(VALU_DEP_2) | instskip(NEXT) | instid1(VALU_DEP_2)
	v_lshlrev_b64 v[30:31], 1, v[30:31]
	v_lshlrev_b64 v[27:28], 1, v[27:28]
	s_delay_alu instid0(VALU_DEP_1) | instskip(NEXT) | instid1(VALU_DEP_2)
	v_add_co_u32 v27, vcc_lo, s28, v27
	v_add_co_ci_u32_e32 v28, vcc_lo, s29, v28, vcc_lo
	s_delay_alu instid0(VALU_DEP_2) | instskip(NEXT) | instid1(VALU_DEP_2)
	v_add_co_u32 v27, vcc_lo, v27, v30
	v_add_co_ci_u32_e32 v28, vcc_lo, v28, v31, vcc_lo
	global_store_d16_hi_b16 v[27:28], v26, off offset:32
.LBB13_239:
	s_or_b32 exec_lo, exec_lo, s0
	v_or_b32_e32 v27, 2, v25
	s_mov_b32 s0, exec_lo
	s_delay_alu instid0(VALU_DEP_1)
	v_cmpx_gt_i32_e64 s20, v27
	s_cbranch_execz .LBB13_245
; %bb.240:
	s_waitcnt lgkmcnt(0)
	v_and_b32_e32 v26, 0x7f800000, v18
	s_delay_alu instid0(VALU_DEP_1) | instskip(SKIP_1) | instid1(SALU_CYCLE_1)
	v_cmp_ne_u32_e32 vcc_lo, 0x7f800000, v26
                                        ; implicit-def: $vgpr26
	s_and_saveexec_b32 s4, vcc_lo
	s_xor_b32 s4, exec_lo, s4
; %bb.241:
	v_bfe_u32 v26, v18, 16, 1
	s_delay_alu instid0(VALU_DEP_1)
	v_add3_u32 v26, v18, v26, 0x7fff
; %bb.242:
	s_and_not1_saveexec_b32 s4, s4
; %bb.243:
	v_and_b32_e32 v26, 0xffff, v18
	v_or_b32_e32 v28, 0x10000, v18
	s_delay_alu instid0(VALU_DEP_2) | instskip(NEXT) | instid1(VALU_DEP_2)
	v_cmp_eq_u32_e32 vcc_lo, 0, v26
	v_cndmask_b32_e32 v26, v28, v18, vcc_lo
; %bb.244:
	s_or_b32 exec_lo, exec_lo, s4
	v_mul_lo_u32 v27, v27, s21
	s_ashr_i32 s4, s3, 31
	v_add_co_u32 v30, s5, s3, v45
	s_delay_alu instid0(VALU_DEP_1) | instskip(NEXT) | instid1(VALU_DEP_3)
	v_add_co_ci_u32_e64 v31, null, s4, 0, s5
	v_ashrrev_i32_e32 v28, 31, v27
	s_delay_alu instid0(VALU_DEP_2) | instskip(NEXT) | instid1(VALU_DEP_2)
	v_lshlrev_b64 v[30:31], 1, v[30:31]
	v_lshlrev_b64 v[27:28], 1, v[27:28]
	s_delay_alu instid0(VALU_DEP_1) | instskip(NEXT) | instid1(VALU_DEP_2)
	v_add_co_u32 v27, vcc_lo, s28, v27
	v_add_co_ci_u32_e32 v28, vcc_lo, s29, v28, vcc_lo
	s_delay_alu instid0(VALU_DEP_2) | instskip(NEXT) | instid1(VALU_DEP_2)
	v_add_co_u32 v27, vcc_lo, v27, v30
	v_add_co_ci_u32_e32 v28, vcc_lo, v28, v31, vcc_lo
	global_store_d16_hi_b16 v[27:28], v26, off offset:32
.LBB13_245:
	s_or_b32 exec_lo, exec_lo, s0
	;; [unrolled: 45-line block ×7, first 2 shown]
	s_waitcnt lgkmcnt(0)
	v_or_b32_e32 v26, 14, v25
	s_delay_alu instid0(VALU_DEP_1)
	v_cmp_gt_i32_e32 vcc_lo, s20, v26
	s_and_b32 exec_lo, exec_lo, vcc_lo
	s_cbranch_execz .LBB13_281
; %bb.276:
	v_and_b32_e32 v25, 0x7f800000, v24
	s_delay_alu instid0(VALU_DEP_1) | instskip(SKIP_1) | instid1(SALU_CYCLE_1)
	v_cmp_ne_u32_e32 vcc_lo, 0x7f800000, v25
                                        ; implicit-def: $vgpr25
	s_and_saveexec_b32 s0, vcc_lo
	s_xor_b32 s0, exec_lo, s0
; %bb.277:
	v_bfe_u32 v25, v24, 16, 1
	s_delay_alu instid0(VALU_DEP_1)
	v_add3_u32 v25, v24, v25, 0x7fff
; %bb.278:
	s_and_not1_saveexec_b32 s0, s0
; %bb.279:
	v_and_b32_e32 v25, 0xffff, v24
	v_or_b32_e32 v27, 0x10000, v24
	s_delay_alu instid0(VALU_DEP_2) | instskip(NEXT) | instid1(VALU_DEP_2)
	v_cmp_eq_u32_e32 vcc_lo, 0, v25
	v_cndmask_b32_e32 v25, v27, v24, vcc_lo
; %bb.280:
	s_or_b32 exec_lo, exec_lo, s0
	v_mul_lo_u32 v26, v26, s21
	s_ashr_i32 s0, s3, 31
	v_add_co_u32 v30, s4, s3, v45
	s_delay_alu instid0(VALU_DEP_1) | instskip(NEXT) | instid1(VALU_DEP_3)
	v_add_co_ci_u32_e64 v31, null, s0, 0, s4
	v_ashrrev_i32_e32 v27, 31, v26
	s_delay_alu instid0(VALU_DEP_2) | instskip(NEXT) | instid1(VALU_DEP_2)
	v_lshlrev_b64 v[30:31], 1, v[30:31]
	v_lshlrev_b64 v[26:27], 1, v[26:27]
	s_delay_alu instid0(VALU_DEP_1) | instskip(NEXT) | instid1(VALU_DEP_2)
	v_add_co_u32 v26, vcc_lo, s28, v26
	v_add_co_ci_u32_e32 v27, vcc_lo, s29, v27, vcc_lo
	s_delay_alu instid0(VALU_DEP_2) | instskip(NEXT) | instid1(VALU_DEP_2)
	v_add_co_u32 v26, vcc_lo, v26, v30
	v_add_co_ci_u32_e32 v27, vcc_lo, v27, v31, vcc_lo
	global_store_d16_hi_b16 v[26:27], v25, off offset:32
.LBB13_281:
	s_or_b32 exec_lo, exec_lo, s1
	s_mov_b32 s1, 0
.LBB13_282:
	s_delay_alu instid0(SALU_CYCLE_1)
	s_and_not1_b32 vcc_lo, exec_lo, s1
	s_cbranch_vccnz .LBB13_444
; %bb.283:
	v_xor_b32_e32 v25, 1, v40
	s_delay_alu instid0(VALU_DEP_1) | instskip(SKIP_2) | instid1(VALU_DEP_2)
	v_cmp_gt_i32_e32 vcc_lo, 32, v25
	v_cndmask_b32_e32 v25, v40, v25, vcc_lo
	v_cmp_eq_u32_e32 vcc_lo, 0, v0
	v_lshlrev_b32_e32 v30, 2, v25
	s_waitcnt lgkmcnt(0)
	ds_bpermute_b32 v26, v30, v17
	s_and_saveexec_b32 s4, vcc_lo
	s_cbranch_execz .LBB13_303
; %bb.284:
	v_or_b32_e32 v25, v39, v46
	v_cmp_gt_i32_e64 s1, s21, v29
	s_delay_alu instid0(VALU_DEP_2) | instskip(NEXT) | instid1(VALU_DEP_1)
	v_cmp_gt_i32_e64 s0, s20, v25
	s_and_b32 s0, s0, s1
	s_delay_alu instid0(SALU_CYCLE_1)
	s_and_b32 exec_lo, exec_lo, s0
	s_cbranch_execz .LBB13_303
; %bb.285:
	v_and_b32_e32 v27, 0x7f800000, v17
	s_delay_alu instid0(VALU_DEP_1) | instskip(NEXT) | instid1(VALU_DEP_1)
	v_cmp_ne_u32_e64 s0, 0x7f800000, v27
                                        ; implicit-def: $vgpr27
	s_and_saveexec_b32 s1, s0
	s_delay_alu instid0(SALU_CYCLE_1)
	s_xor_b32 s0, exec_lo, s1
; %bb.286:
	v_bfe_u32 v27, v17, 16, 1
	s_delay_alu instid0(VALU_DEP_1)
	v_add3_u32 v27, v17, v27, 0x7fff
; %bb.287:
	s_and_not1_saveexec_b32 s1, s0
; %bb.288:
	v_and_b32_e32 v27, 0xffff, v17
	v_or_b32_e32 v28, 0x10000, v17
	s_delay_alu instid0(VALU_DEP_2) | instskip(NEXT) | instid1(VALU_DEP_1)
	v_cmp_eq_u32_e64 s0, 0, v27
	v_cndmask_b32_e64 v27, v28, v17, s0
; %bb.289:
	s_or_b32 exec_lo, exec_lo, s1
	s_waitcnt lgkmcnt(0)
	v_and_b32_e32 v17, 0x7f800000, v26
                                        ; implicit-def: $vgpr31
	s_delay_alu instid0(VALU_DEP_1) | instskip(NEXT) | instid1(VALU_DEP_1)
	v_cmp_ne_u32_e64 s0, 0x7f800000, v17
	s_and_saveexec_b32 s1, s0
	s_delay_alu instid0(SALU_CYCLE_1)
	s_xor_b32 s0, exec_lo, s1
; %bb.290:
	v_bfe_u32 v17, v26, 16, 1
	s_delay_alu instid0(VALU_DEP_1)
	v_add3_u32 v31, v26, v17, 0x7fff
                                        ; implicit-def: $vgpr26
; %bb.291:
	s_and_not1_saveexec_b32 s1, s0
; %bb.292:
	v_and_b32_e32 v17, 0xffff, v26
	v_or_b32_e32 v28, 0x10000, v26
	s_delay_alu instid0(VALU_DEP_2) | instskip(NEXT) | instid1(VALU_DEP_1)
	v_cmp_eq_u32_e64 s0, 0, v17
	v_cndmask_b32_e64 v31, v28, v26, s0
; %bb.293:
	s_or_b32 exec_lo, exec_lo, s1
	v_mul_lo_u32 v25, v25, s21
	s_ashr_i32 s0, s3, 31
	v_add_co_u32 v32, s1, s3, v45
	s_delay_alu instid0(VALU_DEP_1) | instskip(SKIP_2) | instid1(VALU_DEP_4)
	v_add_co_ci_u32_e64 v33, null, s0, 0, s1
	v_and_b32_e32 v31, 0xffff0000, v31
	s_mov_b32 s1, 0
	v_ashrrev_i32_e32 v26, 31, v25
	s_delay_alu instid0(VALU_DEP_3) | instskip(NEXT) | instid1(VALU_DEP_2)
	v_lshlrev_b64 v[32:33], 1, v[32:33]
	v_lshlrev_b64 v[25:26], 1, v[25:26]
	s_delay_alu instid0(VALU_DEP_1) | instskip(NEXT) | instid1(VALU_DEP_1)
	v_add_co_u32 v17, s0, s28, v25
	v_add_co_ci_u32_e64 v26, s0, s29, v26, s0
	s_delay_alu instid0(VALU_DEP_2) | instskip(NEXT) | instid1(VALU_DEP_1)
	v_add_co_u32 v25, s0, v17, v32
	v_add_co_ci_u32_e64 v26, s0, v26, v33, s0
	v_and_b32_e32 v17, 0xffff0000, v27
	global_load_b32 v28, v[25:26], off offset:32
	s_branch .LBB13_295
.LBB13_294:                             ;   in Loop: Header=BB13_295 Depth=1
	s_or_b32 exec_lo, exec_lo, s5
	v_lshrrev_b32_e32 v27, 16, v27
	s_delay_alu instid0(VALU_DEP_1) | instskip(SKIP_4) | instid1(VALU_DEP_2)
	v_and_or_b32 v27, 0xffff0000, v33, v27
	global_atomic_cmpswap_b32 v27, v[25:26], v[27:28], off offset:32 glc
	s_waitcnt vmcnt(0)
	v_cmp_eq_u32_e64 s0, v27, v28
	v_mov_b32_e32 v28, v27
	s_or_b32 s1, s0, s1
	s_delay_alu instid0(SALU_CYCLE_1)
	s_and_not1_b32 exec_lo, exec_lo, s1
	s_cbranch_execz .LBB13_303
.LBB13_295:                             ; =>This Inner Loop Header: Depth=1
	s_waitcnt vmcnt(0)
	v_lshlrev_b32_e32 v27, 16, v28
	s_delay_alu instid0(VALU_DEP_1) | instskip(NEXT) | instid1(VALU_DEP_1)
	v_add_f32_e32 v32, v17, v27
	v_and_b32_e32 v27, 0x7f800000, v32
	s_delay_alu instid0(VALU_DEP_1) | instskip(NEXT) | instid1(VALU_DEP_1)
	v_cmp_ne_u32_e64 s0, 0x7f800000, v27
                                        ; implicit-def: $vgpr27
	s_and_saveexec_b32 s5, s0
	s_delay_alu instid0(SALU_CYCLE_1)
	s_xor_b32 s0, exec_lo, s5
; %bb.296:                              ;   in Loop: Header=BB13_295 Depth=1
	v_bfe_u32 v27, v32, 16, 1
	s_delay_alu instid0(VALU_DEP_1)
	v_add3_u32 v27, v32, v27, 0x7fff
                                        ; implicit-def: $vgpr32
; %bb.297:                              ;   in Loop: Header=BB13_295 Depth=1
	s_and_not1_saveexec_b32 s5, s0
; %bb.298:                              ;   in Loop: Header=BB13_295 Depth=1
	v_and_b32_e32 v27, 0xffff, v32
	v_or_b32_e32 v33, 0x10000, v32
	s_delay_alu instid0(VALU_DEP_2) | instskip(NEXT) | instid1(VALU_DEP_1)
	v_cmp_eq_u32_e64 s0, 0, v27
	v_cndmask_b32_e64 v27, v33, v32, s0
; %bb.299:                              ;   in Loop: Header=BB13_295 Depth=1
	s_or_b32 exec_lo, exec_lo, s5
	v_and_b32_e32 v32, 0xffff0000, v28
	s_delay_alu instid0(VALU_DEP_1) | instskip(NEXT) | instid1(VALU_DEP_1)
	v_add_f32_e32 v32, v31, v32
	v_and_b32_e32 v33, 0x7f800000, v32
	s_delay_alu instid0(VALU_DEP_1) | instskip(NEXT) | instid1(VALU_DEP_1)
	v_cmp_ne_u32_e64 s0, 0x7f800000, v33
                                        ; implicit-def: $vgpr33
	s_and_saveexec_b32 s5, s0
	s_delay_alu instid0(SALU_CYCLE_1)
	s_xor_b32 s0, exec_lo, s5
; %bb.300:                              ;   in Loop: Header=BB13_295 Depth=1
	v_bfe_u32 v33, v32, 16, 1
	s_delay_alu instid0(VALU_DEP_1)
	v_add3_u32 v33, v32, v33, 0x7fff
                                        ; implicit-def: $vgpr32
; %bb.301:                              ;   in Loop: Header=BB13_295 Depth=1
	s_and_not1_saveexec_b32 s5, s0
	s_cbranch_execz .LBB13_294
; %bb.302:                              ;   in Loop: Header=BB13_295 Depth=1
	v_and_b32_e32 v33, 0xffff, v32
	v_or_b32_e32 v34, 0x10000, v32
	s_delay_alu instid0(VALU_DEP_2) | instskip(NEXT) | instid1(VALU_DEP_1)
	v_cmp_eq_u32_e64 s0, 0, v33
	v_cndmask_b32_e64 v33, v34, v32, s0
	s_branch .LBB13_294
.LBB13_303:
	s_or_b32 exec_lo, exec_lo, s4
	s_waitcnt lgkmcnt(0)
	ds_bpermute_b32 v26, v30, v18
	s_and_saveexec_b32 s4, vcc_lo
	s_cbranch_execz .LBB13_323
; %bb.304:
	v_or3_b32 v17, v46, v39, 2
	v_cmp_gt_i32_e64 s1, s21, v29
	s_delay_alu instid0(VALU_DEP_2) | instskip(NEXT) | instid1(VALU_DEP_1)
	v_cmp_gt_i32_e64 s0, s20, v17
	s_and_b32 s0, s0, s1
	s_delay_alu instid0(SALU_CYCLE_1)
	s_and_b32 exec_lo, exec_lo, s0
	s_cbranch_execz .LBB13_323
; %bb.305:
	v_and_b32_e32 v25, 0x7f800000, v18
	s_delay_alu instid0(VALU_DEP_1) | instskip(NEXT) | instid1(VALU_DEP_1)
	v_cmp_ne_u32_e64 s0, 0x7f800000, v25
                                        ; implicit-def: $vgpr25
	s_and_saveexec_b32 s1, s0
	s_delay_alu instid0(SALU_CYCLE_1)
	s_xor_b32 s0, exec_lo, s1
; %bb.306:
	v_bfe_u32 v25, v18, 16, 1
	s_delay_alu instid0(VALU_DEP_1)
	v_add3_u32 v25, v18, v25, 0x7fff
; %bb.307:
	s_and_not1_saveexec_b32 s1, s0
; %bb.308:
	v_and_b32_e32 v25, 0xffff, v18
	v_or_b32_e32 v27, 0x10000, v18
	s_delay_alu instid0(VALU_DEP_2) | instskip(NEXT) | instid1(VALU_DEP_1)
	v_cmp_eq_u32_e64 s0, 0, v25
	v_cndmask_b32_e64 v25, v27, v18, s0
; %bb.309:
	s_or_b32 exec_lo, exec_lo, s1
	s_waitcnt lgkmcnt(0)
	v_and_b32_e32 v18, 0x7f800000, v26
                                        ; implicit-def: $vgpr28
	s_delay_alu instid0(VALU_DEP_1) | instskip(NEXT) | instid1(VALU_DEP_1)
	v_cmp_ne_u32_e64 s0, 0x7f800000, v18
	s_and_saveexec_b32 s1, s0
	s_delay_alu instid0(SALU_CYCLE_1)
	s_xor_b32 s0, exec_lo, s1
; %bb.310:
	v_bfe_u32 v18, v26, 16, 1
	s_delay_alu instid0(VALU_DEP_1)
	v_add3_u32 v28, v26, v18, 0x7fff
                                        ; implicit-def: $vgpr26
; %bb.311:
	s_and_not1_saveexec_b32 s1, s0
; %bb.312:
	v_and_b32_e32 v18, 0xffff, v26
	v_or_b32_e32 v27, 0x10000, v26
	s_delay_alu instid0(VALU_DEP_2) | instskip(NEXT) | instid1(VALU_DEP_1)
	v_cmp_eq_u32_e64 s0, 0, v18
	v_cndmask_b32_e64 v28, v27, v26, s0
; %bb.313:
	s_or_b32 exec_lo, exec_lo, s1
	v_mul_lo_u32 v17, v17, s21
	s_ashr_i32 s0, s3, 31
	v_add_co_u32 v26, s1, s3, v45
	s_delay_alu instid0(VALU_DEP_1) | instskip(SKIP_2) | instid1(VALU_DEP_4)
	v_add_co_ci_u32_e64 v27, null, s0, 0, s1
	v_and_b32_e32 v28, 0xffff0000, v28
	s_mov_b32 s1, 0
	v_ashrrev_i32_e32 v18, 31, v17
	s_delay_alu instid0(VALU_DEP_3) | instskip(NEXT) | instid1(VALU_DEP_2)
	v_lshlrev_b64 v[26:27], 1, v[26:27]
	v_lshlrev_b64 v[17:18], 1, v[17:18]
	s_delay_alu instid0(VALU_DEP_1) | instskip(NEXT) | instid1(VALU_DEP_1)
	v_add_co_u32 v17, s0, s28, v17
	v_add_co_ci_u32_e64 v18, s0, s29, v18, s0
	s_delay_alu instid0(VALU_DEP_2) | instskip(NEXT) | instid1(VALU_DEP_1)
	v_add_co_u32 v17, s0, v17, v26
	v_add_co_ci_u32_e64 v18, s0, v18, v27, s0
	v_and_b32_e32 v27, 0xffff0000, v25
	global_load_b32 v26, v[17:18], off offset:32
	s_branch .LBB13_315
.LBB13_314:                             ;   in Loop: Header=BB13_315 Depth=1
	s_or_b32 exec_lo, exec_lo, s5
	v_lshrrev_b32_e32 v25, 16, v25
	s_delay_alu instid0(VALU_DEP_1) | instskip(SKIP_4) | instid1(VALU_DEP_2)
	v_and_or_b32 v25, 0xffff0000, v32, v25
	global_atomic_cmpswap_b32 v25, v[17:18], v[25:26], off offset:32 glc
	s_waitcnt vmcnt(0)
	v_cmp_eq_u32_e64 s0, v25, v26
	v_mov_b32_e32 v26, v25
	s_or_b32 s1, s0, s1
	s_delay_alu instid0(SALU_CYCLE_1)
	s_and_not1_b32 exec_lo, exec_lo, s1
	s_cbranch_execz .LBB13_323
.LBB13_315:                             ; =>This Inner Loop Header: Depth=1
	s_waitcnt vmcnt(0)
	v_lshlrev_b32_e32 v25, 16, v26
	s_delay_alu instid0(VALU_DEP_1) | instskip(NEXT) | instid1(VALU_DEP_1)
	v_add_f32_e32 v31, v27, v25
	v_and_b32_e32 v25, 0x7f800000, v31
	s_delay_alu instid0(VALU_DEP_1) | instskip(NEXT) | instid1(VALU_DEP_1)
	v_cmp_ne_u32_e64 s0, 0x7f800000, v25
                                        ; implicit-def: $vgpr25
	s_and_saveexec_b32 s5, s0
	s_delay_alu instid0(SALU_CYCLE_1)
	s_xor_b32 s0, exec_lo, s5
; %bb.316:                              ;   in Loop: Header=BB13_315 Depth=1
	v_bfe_u32 v25, v31, 16, 1
	s_delay_alu instid0(VALU_DEP_1)
	v_add3_u32 v25, v31, v25, 0x7fff
                                        ; implicit-def: $vgpr31
; %bb.317:                              ;   in Loop: Header=BB13_315 Depth=1
	s_and_not1_saveexec_b32 s5, s0
; %bb.318:                              ;   in Loop: Header=BB13_315 Depth=1
	v_and_b32_e32 v25, 0xffff, v31
	v_or_b32_e32 v32, 0x10000, v31
	s_delay_alu instid0(VALU_DEP_2) | instskip(NEXT) | instid1(VALU_DEP_1)
	v_cmp_eq_u32_e64 s0, 0, v25
	v_cndmask_b32_e64 v25, v32, v31, s0
; %bb.319:                              ;   in Loop: Header=BB13_315 Depth=1
	s_or_b32 exec_lo, exec_lo, s5
	v_and_b32_e32 v31, 0xffff0000, v26
	s_delay_alu instid0(VALU_DEP_1) | instskip(NEXT) | instid1(VALU_DEP_1)
	v_add_f32_e32 v31, v28, v31
	v_and_b32_e32 v32, 0x7f800000, v31
	s_delay_alu instid0(VALU_DEP_1) | instskip(NEXT) | instid1(VALU_DEP_1)
	v_cmp_ne_u32_e64 s0, 0x7f800000, v32
                                        ; implicit-def: $vgpr32
	s_and_saveexec_b32 s5, s0
	s_delay_alu instid0(SALU_CYCLE_1)
	s_xor_b32 s0, exec_lo, s5
; %bb.320:                              ;   in Loop: Header=BB13_315 Depth=1
	v_bfe_u32 v32, v31, 16, 1
	s_delay_alu instid0(VALU_DEP_1)
	v_add3_u32 v32, v31, v32, 0x7fff
                                        ; implicit-def: $vgpr31
; %bb.321:                              ;   in Loop: Header=BB13_315 Depth=1
	s_and_not1_saveexec_b32 s5, s0
	s_cbranch_execz .LBB13_314
; %bb.322:                              ;   in Loop: Header=BB13_315 Depth=1
	v_and_b32_e32 v32, 0xffff, v31
	v_or_b32_e32 v33, 0x10000, v31
	s_delay_alu instid0(VALU_DEP_2) | instskip(NEXT) | instid1(VALU_DEP_1)
	v_cmp_eq_u32_e64 s0, 0, v32
	v_cndmask_b32_e64 v32, v33, v31, s0
	s_branch .LBB13_314
.LBB13_323:
	s_or_b32 exec_lo, exec_lo, s4
	ds_bpermute_b32 v18, v30, v19
	s_and_saveexec_b32 s4, vcc_lo
	s_cbranch_execz .LBB13_343
; %bb.324:
	v_or3_b32 v17, v46, v39, 4
	v_cmp_gt_i32_e64 s1, s21, v29
	s_delay_alu instid0(VALU_DEP_2) | instskip(NEXT) | instid1(VALU_DEP_1)
	v_cmp_gt_i32_e64 s0, s20, v17
	s_and_b32 s0, s0, s1
	s_delay_alu instid0(SALU_CYCLE_1)
	s_and_b32 exec_lo, exec_lo, s0
	s_cbranch_execz .LBB13_343
; %bb.325:
	v_and_b32_e32 v25, 0x7f800000, v19
	s_delay_alu instid0(VALU_DEP_1) | instskip(NEXT) | instid1(VALU_DEP_1)
	v_cmp_ne_u32_e64 s0, 0x7f800000, v25
                                        ; implicit-def: $vgpr25
	s_and_saveexec_b32 s1, s0
	s_delay_alu instid0(SALU_CYCLE_1)
	s_xor_b32 s0, exec_lo, s1
; %bb.326:
	v_bfe_u32 v25, v19, 16, 1
	s_delay_alu instid0(VALU_DEP_1)
	v_add3_u32 v25, v19, v25, 0x7fff
; %bb.327:
	s_and_not1_saveexec_b32 s1, s0
	s_cbranch_execz .LBB13_329
; %bb.328:
	v_and_b32_e32 v25, 0xffff, v19
	s_waitcnt lgkmcnt(1)
	v_or_b32_e32 v26, 0x10000, v19
	s_delay_alu instid0(VALU_DEP_2) | instskip(NEXT) | instid1(VALU_DEP_1)
	v_cmp_eq_u32_e64 s0, 0, v25
	v_cndmask_b32_e64 v25, v26, v19, s0
.LBB13_329:
	s_or_b32 exec_lo, exec_lo, s1
	s_waitcnt lgkmcnt(0)
	v_and_b32_e32 v19, 0x7f800000, v18
                                        ; implicit-def: $vgpr27
	s_delay_alu instid0(VALU_DEP_1) | instskip(NEXT) | instid1(VALU_DEP_1)
	v_cmp_ne_u32_e64 s0, 0x7f800000, v19
	s_and_saveexec_b32 s1, s0
	s_delay_alu instid0(SALU_CYCLE_1)
	s_xor_b32 s0, exec_lo, s1
; %bb.330:
	v_bfe_u32 v19, v18, 16, 1
	s_delay_alu instid0(VALU_DEP_1)
	v_add3_u32 v27, v18, v19, 0x7fff
                                        ; implicit-def: $vgpr18
; %bb.331:
	s_and_not1_saveexec_b32 s1, s0
; %bb.332:
	v_and_b32_e32 v19, 0xffff, v18
	v_or_b32_e32 v26, 0x10000, v18
	s_delay_alu instid0(VALU_DEP_2) | instskip(NEXT) | instid1(VALU_DEP_1)
	v_cmp_eq_u32_e64 s0, 0, v19
	v_cndmask_b32_e64 v27, v26, v18, s0
; %bb.333:
	s_or_b32 exec_lo, exec_lo, s1
	v_mul_lo_u32 v17, v17, s21
	s_ashr_i32 s0, s3, 31
	v_add_co_u32 v31, s1, s3, v45
	s_delay_alu instid0(VALU_DEP_1) | instskip(SKIP_3) | instid1(VALU_DEP_4)
	v_add_co_ci_u32_e64 v32, null, s0, 0, s1
	v_and_b32_e32 v19, 0xffff0000, v25
	v_and_b32_e32 v27, 0xffff0000, v27
	v_ashrrev_i32_e32 v18, 31, v17
	v_lshlrev_b64 v[31:32], 1, v[31:32]
	s_mov_b32 s1, 0
	s_delay_alu instid0(VALU_DEP_2) | instskip(NEXT) | instid1(VALU_DEP_1)
	v_lshlrev_b64 v[17:18], 1, v[17:18]
	v_add_co_u32 v17, s0, s28, v17
	s_delay_alu instid0(VALU_DEP_1) | instskip(NEXT) | instid1(VALU_DEP_2)
	v_add_co_ci_u32_e64 v18, s0, s29, v18, s0
	v_add_co_u32 v17, s0, v17, v31
	s_delay_alu instid0(VALU_DEP_1)
	v_add_co_ci_u32_e64 v18, s0, v18, v32, s0
	global_load_b32 v26, v[17:18], off offset:32
	s_branch .LBB13_335
.LBB13_334:                             ;   in Loop: Header=BB13_335 Depth=1
	s_or_b32 exec_lo, exec_lo, s5
	v_lshrrev_b32_e32 v25, 16, v25
	s_delay_alu instid0(VALU_DEP_1) | instskip(SKIP_4) | instid1(VALU_DEP_2)
	v_and_or_b32 v25, 0xffff0000, v31, v25
	global_atomic_cmpswap_b32 v25, v[17:18], v[25:26], off offset:32 glc
	s_waitcnt vmcnt(0)
	v_cmp_eq_u32_e64 s0, v25, v26
	v_mov_b32_e32 v26, v25
	s_or_b32 s1, s0, s1
	s_delay_alu instid0(SALU_CYCLE_1)
	s_and_not1_b32 exec_lo, exec_lo, s1
	s_cbranch_execz .LBB13_343
.LBB13_335:                             ; =>This Inner Loop Header: Depth=1
	s_waitcnt vmcnt(0)
	v_lshlrev_b32_e32 v25, 16, v26
	s_delay_alu instid0(VALU_DEP_1) | instskip(NEXT) | instid1(VALU_DEP_1)
	v_add_f32_e32 v28, v19, v25
	v_and_b32_e32 v25, 0x7f800000, v28
	s_delay_alu instid0(VALU_DEP_1) | instskip(NEXT) | instid1(VALU_DEP_1)
	v_cmp_ne_u32_e64 s0, 0x7f800000, v25
                                        ; implicit-def: $vgpr25
	s_and_saveexec_b32 s5, s0
	s_delay_alu instid0(SALU_CYCLE_1)
	s_xor_b32 s0, exec_lo, s5
; %bb.336:                              ;   in Loop: Header=BB13_335 Depth=1
	v_bfe_u32 v25, v28, 16, 1
	s_delay_alu instid0(VALU_DEP_1)
	v_add3_u32 v25, v28, v25, 0x7fff
                                        ; implicit-def: $vgpr28
; %bb.337:                              ;   in Loop: Header=BB13_335 Depth=1
	s_and_not1_saveexec_b32 s5, s0
; %bb.338:                              ;   in Loop: Header=BB13_335 Depth=1
	v_and_b32_e32 v25, 0xffff, v28
	v_or_b32_e32 v31, 0x10000, v28
	s_delay_alu instid0(VALU_DEP_2) | instskip(NEXT) | instid1(VALU_DEP_1)
	v_cmp_eq_u32_e64 s0, 0, v25
	v_cndmask_b32_e64 v25, v31, v28, s0
; %bb.339:                              ;   in Loop: Header=BB13_335 Depth=1
	s_or_b32 exec_lo, exec_lo, s5
	v_and_b32_e32 v28, 0xffff0000, v26
	s_delay_alu instid0(VALU_DEP_1) | instskip(NEXT) | instid1(VALU_DEP_1)
	v_add_f32_e32 v28, v27, v28
	v_and_b32_e32 v31, 0x7f800000, v28
	s_delay_alu instid0(VALU_DEP_1) | instskip(NEXT) | instid1(VALU_DEP_1)
	v_cmp_ne_u32_e64 s0, 0x7f800000, v31
                                        ; implicit-def: $vgpr31
	s_and_saveexec_b32 s5, s0
	s_delay_alu instid0(SALU_CYCLE_1)
	s_xor_b32 s0, exec_lo, s5
; %bb.340:                              ;   in Loop: Header=BB13_335 Depth=1
	v_bfe_u32 v31, v28, 16, 1
	s_delay_alu instid0(VALU_DEP_1)
	v_add3_u32 v31, v28, v31, 0x7fff
                                        ; implicit-def: $vgpr28
; %bb.341:                              ;   in Loop: Header=BB13_335 Depth=1
	s_and_not1_saveexec_b32 s5, s0
	s_cbranch_execz .LBB13_334
; %bb.342:                              ;   in Loop: Header=BB13_335 Depth=1
	v_and_b32_e32 v31, 0xffff, v28
	v_or_b32_e32 v32, 0x10000, v28
	s_delay_alu instid0(VALU_DEP_2) | instskip(NEXT) | instid1(VALU_DEP_1)
	v_cmp_eq_u32_e64 s0, 0, v31
	v_cndmask_b32_e64 v31, v32, v28, s0
	s_branch .LBB13_334
.LBB13_343:
	s_or_b32 exec_lo, exec_lo, s4
	s_waitcnt lgkmcnt(0)
	ds_bpermute_b32 v18, v30, v20
	s_and_saveexec_b32 s4, vcc_lo
	s_cbranch_execz .LBB13_363
; %bb.344:
	v_or3_b32 v17, v46, v39, 6
	v_cmp_gt_i32_e64 s1, s21, v29
	s_delay_alu instid0(VALU_DEP_2) | instskip(NEXT) | instid1(VALU_DEP_1)
	v_cmp_gt_i32_e64 s0, s20, v17
	s_and_b32 s0, s0, s1
	s_delay_alu instid0(SALU_CYCLE_1)
	s_and_b32 exec_lo, exec_lo, s0
	s_cbranch_execz .LBB13_363
; %bb.345:
	v_and_b32_e32 v19, 0x7f800000, v20
	s_delay_alu instid0(VALU_DEP_1) | instskip(NEXT) | instid1(VALU_DEP_1)
	v_cmp_ne_u32_e64 s0, 0x7f800000, v19
                                        ; implicit-def: $vgpr19
	s_and_saveexec_b32 s1, s0
	s_delay_alu instid0(SALU_CYCLE_1)
	s_xor_b32 s0, exec_lo, s1
; %bb.346:
	v_bfe_u32 v19, v20, 16, 1
	s_delay_alu instid0(VALU_DEP_1)
	v_add3_u32 v19, v20, v19, 0x7fff
; %bb.347:
	s_and_not1_saveexec_b32 s1, s0
; %bb.348:
	v_and_b32_e32 v19, 0xffff, v20
	v_or_b32_e32 v25, 0x10000, v20
	s_delay_alu instid0(VALU_DEP_2) | instskip(NEXT) | instid1(VALU_DEP_1)
	v_cmp_eq_u32_e64 s0, 0, v19
	v_cndmask_b32_e64 v19, v25, v20, s0
; %bb.349:
	s_or_b32 exec_lo, exec_lo, s1
	s_waitcnt lgkmcnt(0)
	v_and_b32_e32 v20, 0x7f800000, v18
                                        ; implicit-def: $vgpr26
	s_delay_alu instid0(VALU_DEP_1) | instskip(NEXT) | instid1(VALU_DEP_1)
	v_cmp_ne_u32_e64 s0, 0x7f800000, v20
	s_and_saveexec_b32 s1, s0
	s_delay_alu instid0(SALU_CYCLE_1)
	s_xor_b32 s0, exec_lo, s1
; %bb.350:
	v_bfe_u32 v20, v18, 16, 1
	s_delay_alu instid0(VALU_DEP_1)
	v_add3_u32 v26, v18, v20, 0x7fff
                                        ; implicit-def: $vgpr18
; %bb.351:
	s_and_not1_saveexec_b32 s1, s0
; %bb.352:
	v_and_b32_e32 v20, 0xffff, v18
	v_or_b32_e32 v25, 0x10000, v18
	s_delay_alu instid0(VALU_DEP_2) | instskip(NEXT) | instid1(VALU_DEP_1)
	v_cmp_eq_u32_e64 s0, 0, v20
	v_cndmask_b32_e64 v26, v25, v18, s0
; %bb.353:
	s_or_b32 exec_lo, exec_lo, s1
	v_mul_lo_u32 v17, v17, s21
	s_ashr_i32 s0, s3, 31
	v_add_co_u32 v27, s1, s3, v45
	s_delay_alu instid0(VALU_DEP_1) | instskip(SKIP_3) | instid1(VALU_DEP_4)
	v_add_co_ci_u32_e64 v28, null, s0, 0, s1
	v_and_b32_e32 v25, 0xffff0000, v19
	v_and_b32_e32 v26, 0xffff0000, v26
	v_ashrrev_i32_e32 v18, 31, v17
	v_lshlrev_b64 v[27:28], 1, v[27:28]
	s_mov_b32 s1, 0
	s_delay_alu instid0(VALU_DEP_2) | instskip(NEXT) | instid1(VALU_DEP_1)
	v_lshlrev_b64 v[17:18], 1, v[17:18]
	v_add_co_u32 v17, s0, s28, v17
	s_delay_alu instid0(VALU_DEP_1) | instskip(NEXT) | instid1(VALU_DEP_2)
	v_add_co_ci_u32_e64 v18, s0, s29, v18, s0
	v_add_co_u32 v17, s0, v17, v27
	s_delay_alu instid0(VALU_DEP_1)
	v_add_co_ci_u32_e64 v18, s0, v18, v28, s0
	global_load_b32 v20, v[17:18], off offset:32
	s_branch .LBB13_355
.LBB13_354:                             ;   in Loop: Header=BB13_355 Depth=1
	s_or_b32 exec_lo, exec_lo, s5
	v_lshrrev_b32_e32 v19, 16, v19
	s_delay_alu instid0(VALU_DEP_1) | instskip(SKIP_4) | instid1(VALU_DEP_2)
	v_and_or_b32 v19, 0xffff0000, v28, v19
	global_atomic_cmpswap_b32 v19, v[17:18], v[19:20], off offset:32 glc
	s_waitcnt vmcnt(0)
	v_cmp_eq_u32_e64 s0, v19, v20
	v_mov_b32_e32 v20, v19
	s_or_b32 s1, s0, s1
	s_delay_alu instid0(SALU_CYCLE_1)
	s_and_not1_b32 exec_lo, exec_lo, s1
	s_cbranch_execz .LBB13_363
.LBB13_355:                             ; =>This Inner Loop Header: Depth=1
	s_waitcnt vmcnt(0)
	v_lshlrev_b32_e32 v19, 16, v20
	s_delay_alu instid0(VALU_DEP_1) | instskip(NEXT) | instid1(VALU_DEP_1)
	v_add_f32_e32 v27, v25, v19
	v_and_b32_e32 v19, 0x7f800000, v27
	s_delay_alu instid0(VALU_DEP_1) | instskip(NEXT) | instid1(VALU_DEP_1)
	v_cmp_ne_u32_e64 s0, 0x7f800000, v19
                                        ; implicit-def: $vgpr19
	s_and_saveexec_b32 s5, s0
	s_delay_alu instid0(SALU_CYCLE_1)
	s_xor_b32 s0, exec_lo, s5
; %bb.356:                              ;   in Loop: Header=BB13_355 Depth=1
	v_bfe_u32 v19, v27, 16, 1
	s_delay_alu instid0(VALU_DEP_1)
	v_add3_u32 v19, v27, v19, 0x7fff
                                        ; implicit-def: $vgpr27
; %bb.357:                              ;   in Loop: Header=BB13_355 Depth=1
	s_and_not1_saveexec_b32 s5, s0
; %bb.358:                              ;   in Loop: Header=BB13_355 Depth=1
	v_and_b32_e32 v19, 0xffff, v27
	v_or_b32_e32 v28, 0x10000, v27
	s_delay_alu instid0(VALU_DEP_2) | instskip(NEXT) | instid1(VALU_DEP_1)
	v_cmp_eq_u32_e64 s0, 0, v19
	v_cndmask_b32_e64 v19, v28, v27, s0
; %bb.359:                              ;   in Loop: Header=BB13_355 Depth=1
	s_or_b32 exec_lo, exec_lo, s5
	v_and_b32_e32 v27, 0xffff0000, v20
	s_delay_alu instid0(VALU_DEP_1) | instskip(NEXT) | instid1(VALU_DEP_1)
	v_add_f32_e32 v27, v26, v27
	v_and_b32_e32 v28, 0x7f800000, v27
	s_delay_alu instid0(VALU_DEP_1) | instskip(NEXT) | instid1(VALU_DEP_1)
	v_cmp_ne_u32_e64 s0, 0x7f800000, v28
                                        ; implicit-def: $vgpr28
	s_and_saveexec_b32 s5, s0
	s_delay_alu instid0(SALU_CYCLE_1)
	s_xor_b32 s0, exec_lo, s5
; %bb.360:                              ;   in Loop: Header=BB13_355 Depth=1
	v_bfe_u32 v28, v27, 16, 1
	s_delay_alu instid0(VALU_DEP_1)
	v_add3_u32 v28, v27, v28, 0x7fff
                                        ; implicit-def: $vgpr27
; %bb.361:                              ;   in Loop: Header=BB13_355 Depth=1
	s_and_not1_saveexec_b32 s5, s0
	s_cbranch_execz .LBB13_354
; %bb.362:                              ;   in Loop: Header=BB13_355 Depth=1
	v_and_b32_e32 v28, 0xffff, v27
	v_or_b32_e32 v31, 0x10000, v27
	s_delay_alu instid0(VALU_DEP_2) | instskip(NEXT) | instid1(VALU_DEP_1)
	v_cmp_eq_u32_e64 s0, 0, v28
	v_cndmask_b32_e64 v28, v31, v27, s0
	s_branch .LBB13_354
.LBB13_363:
	s_or_b32 exec_lo, exec_lo, s4
	s_waitcnt lgkmcnt(0)
	ds_bpermute_b32 v18, v30, v21
	s_and_saveexec_b32 s4, vcc_lo
	s_cbranch_execz .LBB13_383
; %bb.364:
	v_or3_b32 v17, v46, v39, 8
	v_cmp_gt_i32_e64 s1, s21, v29
	s_delay_alu instid0(VALU_DEP_2) | instskip(NEXT) | instid1(VALU_DEP_1)
	v_cmp_gt_i32_e64 s0, s20, v17
	s_and_b32 s0, s0, s1
	s_delay_alu instid0(SALU_CYCLE_1)
	s_and_b32 exec_lo, exec_lo, s0
	s_cbranch_execz .LBB13_383
; %bb.365:
	v_and_b32_e32 v19, 0x7f800000, v21
	s_delay_alu instid0(VALU_DEP_1) | instskip(NEXT) | instid1(VALU_DEP_1)
	v_cmp_ne_u32_e64 s0, 0x7f800000, v19
                                        ; implicit-def: $vgpr19
	s_and_saveexec_b32 s1, s0
	s_delay_alu instid0(SALU_CYCLE_1)
	s_xor_b32 s0, exec_lo, s1
; %bb.366:
	v_bfe_u32 v19, v21, 16, 1
	s_delay_alu instid0(VALU_DEP_1)
	v_add3_u32 v19, v21, v19, 0x7fff
; %bb.367:
	s_and_not1_saveexec_b32 s1, s0
; %bb.368:
	v_and_b32_e32 v19, 0xffff, v21
	v_or_b32_e32 v20, 0x10000, v21
	s_delay_alu instid0(VALU_DEP_2) | instskip(NEXT) | instid1(VALU_DEP_1)
	v_cmp_eq_u32_e64 s0, 0, v19
	v_cndmask_b32_e64 v19, v20, v21, s0
; %bb.369:
	s_or_b32 exec_lo, exec_lo, s1
	s_waitcnt lgkmcnt(0)
	v_and_b32_e32 v20, 0x7f800000, v18
                                        ; implicit-def: $vgpr25
	s_delay_alu instid0(VALU_DEP_1) | instskip(NEXT) | instid1(VALU_DEP_1)
	v_cmp_ne_u32_e64 s0, 0x7f800000, v20
	s_and_saveexec_b32 s1, s0
	s_delay_alu instid0(SALU_CYCLE_1)
	s_xor_b32 s0, exec_lo, s1
; %bb.370:
	v_bfe_u32 v20, v18, 16, 1
	s_delay_alu instid0(VALU_DEP_1)
	v_add3_u32 v25, v18, v20, 0x7fff
                                        ; implicit-def: $vgpr18
; %bb.371:
	s_and_not1_saveexec_b32 s1, s0
; %bb.372:
	v_and_b32_e32 v20, 0xffff, v18
	v_or_b32_e32 v21, 0x10000, v18
	s_delay_alu instid0(VALU_DEP_2) | instskip(NEXT) | instid1(VALU_DEP_1)
	v_cmp_eq_u32_e64 s0, 0, v20
	v_cndmask_b32_e64 v25, v21, v18, s0
; %bb.373:
	s_or_b32 exec_lo, exec_lo, s1
	v_mul_lo_u32 v17, v17, s21
	s_ashr_i32 s0, s3, 31
	v_add_co_u32 v20, s1, s3, v45
	s_delay_alu instid0(VALU_DEP_1) | instskip(SKIP_2) | instid1(VALU_DEP_4)
	v_add_co_ci_u32_e64 v21, null, s0, 0, s1
	v_and_b32_e32 v25, 0xffff0000, v25
	s_mov_b32 s1, 0
	v_ashrrev_i32_e32 v18, 31, v17
	s_delay_alu instid0(VALU_DEP_3) | instskip(NEXT) | instid1(VALU_DEP_2)
	v_lshlrev_b64 v[20:21], 1, v[20:21]
	v_lshlrev_b64 v[17:18], 1, v[17:18]
	s_delay_alu instid0(VALU_DEP_1) | instskip(NEXT) | instid1(VALU_DEP_1)
	v_add_co_u32 v17, s0, s28, v17
	v_add_co_ci_u32_e64 v18, s0, s29, v18, s0
	s_delay_alu instid0(VALU_DEP_2) | instskip(NEXT) | instid1(VALU_DEP_1)
	v_add_co_u32 v17, s0, v17, v20
	v_add_co_ci_u32_e64 v18, s0, v18, v21, s0
	v_and_b32_e32 v21, 0xffff0000, v19
	global_load_b32 v20, v[17:18], off offset:32
	s_branch .LBB13_375
.LBB13_374:                             ;   in Loop: Header=BB13_375 Depth=1
	s_or_b32 exec_lo, exec_lo, s5
	v_lshrrev_b32_e32 v19, 16, v19
	s_delay_alu instid0(VALU_DEP_1) | instskip(SKIP_4) | instid1(VALU_DEP_2)
	v_and_or_b32 v19, 0xffff0000, v27, v19
	global_atomic_cmpswap_b32 v19, v[17:18], v[19:20], off offset:32 glc
	s_waitcnt vmcnt(0)
	v_cmp_eq_u32_e64 s0, v19, v20
	v_mov_b32_e32 v20, v19
	s_or_b32 s1, s0, s1
	s_delay_alu instid0(SALU_CYCLE_1)
	s_and_not1_b32 exec_lo, exec_lo, s1
	s_cbranch_execz .LBB13_383
.LBB13_375:                             ; =>This Inner Loop Header: Depth=1
	s_waitcnt vmcnt(0)
	v_lshlrev_b32_e32 v19, 16, v20
	s_delay_alu instid0(VALU_DEP_1) | instskip(NEXT) | instid1(VALU_DEP_1)
	v_add_f32_e32 v26, v21, v19
	v_and_b32_e32 v19, 0x7f800000, v26
	s_delay_alu instid0(VALU_DEP_1) | instskip(NEXT) | instid1(VALU_DEP_1)
	v_cmp_ne_u32_e64 s0, 0x7f800000, v19
                                        ; implicit-def: $vgpr19
	s_and_saveexec_b32 s5, s0
	s_delay_alu instid0(SALU_CYCLE_1)
	s_xor_b32 s0, exec_lo, s5
; %bb.376:                              ;   in Loop: Header=BB13_375 Depth=1
	v_bfe_u32 v19, v26, 16, 1
	s_delay_alu instid0(VALU_DEP_1)
	v_add3_u32 v19, v26, v19, 0x7fff
                                        ; implicit-def: $vgpr26
; %bb.377:                              ;   in Loop: Header=BB13_375 Depth=1
	s_and_not1_saveexec_b32 s5, s0
; %bb.378:                              ;   in Loop: Header=BB13_375 Depth=1
	v_and_b32_e32 v19, 0xffff, v26
	v_or_b32_e32 v27, 0x10000, v26
	s_delay_alu instid0(VALU_DEP_2) | instskip(NEXT) | instid1(VALU_DEP_1)
	v_cmp_eq_u32_e64 s0, 0, v19
	v_cndmask_b32_e64 v19, v27, v26, s0
; %bb.379:                              ;   in Loop: Header=BB13_375 Depth=1
	s_or_b32 exec_lo, exec_lo, s5
	v_and_b32_e32 v26, 0xffff0000, v20
	s_delay_alu instid0(VALU_DEP_1) | instskip(NEXT) | instid1(VALU_DEP_1)
	v_add_f32_e32 v26, v25, v26
	v_and_b32_e32 v27, 0x7f800000, v26
	s_delay_alu instid0(VALU_DEP_1) | instskip(NEXT) | instid1(VALU_DEP_1)
	v_cmp_ne_u32_e64 s0, 0x7f800000, v27
                                        ; implicit-def: $vgpr27
	s_and_saveexec_b32 s5, s0
	s_delay_alu instid0(SALU_CYCLE_1)
	s_xor_b32 s0, exec_lo, s5
; %bb.380:                              ;   in Loop: Header=BB13_375 Depth=1
	v_bfe_u32 v27, v26, 16, 1
	s_delay_alu instid0(VALU_DEP_1)
	v_add3_u32 v27, v26, v27, 0x7fff
                                        ; implicit-def: $vgpr26
; %bb.381:                              ;   in Loop: Header=BB13_375 Depth=1
	s_and_not1_saveexec_b32 s5, s0
	s_cbranch_execz .LBB13_374
; %bb.382:                              ;   in Loop: Header=BB13_375 Depth=1
	v_and_b32_e32 v27, 0xffff, v26
	v_or_b32_e32 v28, 0x10000, v26
	s_delay_alu instid0(VALU_DEP_2) | instskip(NEXT) | instid1(VALU_DEP_1)
	v_cmp_eq_u32_e64 s0, 0, v27
	v_cndmask_b32_e64 v27, v28, v26, s0
	s_branch .LBB13_374
.LBB13_383:
	s_or_b32 exec_lo, exec_lo, s4
	s_waitcnt lgkmcnt(0)
	ds_bpermute_b32 v18, v30, v22
	s_and_saveexec_b32 s4, vcc_lo
	s_cbranch_execz .LBB13_403
; %bb.384:
	v_or3_b32 v17, v46, v39, 10
	v_cmp_gt_i32_e64 s1, s21, v29
	s_delay_alu instid0(VALU_DEP_2) | instskip(NEXT) | instid1(VALU_DEP_1)
	v_cmp_gt_i32_e64 s0, s20, v17
	s_and_b32 s0, s0, s1
	s_delay_alu instid0(SALU_CYCLE_1)
	s_and_b32 exec_lo, exec_lo, s0
	s_cbranch_execz .LBB13_403
; %bb.385:
	v_and_b32_e32 v19, 0x7f800000, v22
	s_delay_alu instid0(VALU_DEP_1) | instskip(NEXT) | instid1(VALU_DEP_1)
	v_cmp_ne_u32_e64 s0, 0x7f800000, v19
                                        ; implicit-def: $vgpr19
	s_and_saveexec_b32 s1, s0
	s_delay_alu instid0(SALU_CYCLE_1)
	s_xor_b32 s0, exec_lo, s1
; %bb.386:
	v_bfe_u32 v19, v22, 16, 1
	s_delay_alu instid0(VALU_DEP_1)
	v_add3_u32 v19, v22, v19, 0x7fff
; %bb.387:
	s_and_not1_saveexec_b32 s1, s0
; %bb.388:
	v_and_b32_e32 v19, 0xffff, v22
	v_or_b32_e32 v20, 0x10000, v22
	s_delay_alu instid0(VALU_DEP_2) | instskip(NEXT) | instid1(VALU_DEP_1)
	v_cmp_eq_u32_e64 s0, 0, v19
	v_cndmask_b32_e64 v19, v20, v22, s0
; %bb.389:
	s_or_b32 exec_lo, exec_lo, s1
	s_waitcnt lgkmcnt(0)
	v_and_b32_e32 v20, 0x7f800000, v18
                                        ; implicit-def: $vgpr22
	s_delay_alu instid0(VALU_DEP_1) | instskip(NEXT) | instid1(VALU_DEP_1)
	v_cmp_ne_u32_e64 s0, 0x7f800000, v20
	s_and_saveexec_b32 s1, s0
	s_delay_alu instid0(SALU_CYCLE_1)
	s_xor_b32 s0, exec_lo, s1
; %bb.390:
	v_bfe_u32 v20, v18, 16, 1
	s_delay_alu instid0(VALU_DEP_1)
	v_add3_u32 v22, v18, v20, 0x7fff
                                        ; implicit-def: $vgpr18
; %bb.391:
	s_and_not1_saveexec_b32 s1, s0
; %bb.392:
	v_and_b32_e32 v20, 0xffff, v18
	v_or_b32_e32 v21, 0x10000, v18
	s_delay_alu instid0(VALU_DEP_2) | instskip(NEXT) | instid1(VALU_DEP_1)
	v_cmp_eq_u32_e64 s0, 0, v20
	v_cndmask_b32_e64 v22, v21, v18, s0
; %bb.393:
	s_or_b32 exec_lo, exec_lo, s1
	v_mul_lo_u32 v17, v17, s21
	s_ashr_i32 s0, s3, 31
	v_add_co_u32 v20, s1, s3, v45
	s_delay_alu instid0(VALU_DEP_1) | instskip(SKIP_2) | instid1(VALU_DEP_4)
	v_add_co_ci_u32_e64 v21, null, s0, 0, s1
	v_and_b32_e32 v22, 0xffff0000, v22
	s_mov_b32 s1, 0
	v_ashrrev_i32_e32 v18, 31, v17
	s_delay_alu instid0(VALU_DEP_3) | instskip(NEXT) | instid1(VALU_DEP_2)
	v_lshlrev_b64 v[20:21], 1, v[20:21]
	v_lshlrev_b64 v[17:18], 1, v[17:18]
	s_delay_alu instid0(VALU_DEP_1) | instskip(NEXT) | instid1(VALU_DEP_1)
	v_add_co_u32 v17, s0, s28, v17
	v_add_co_ci_u32_e64 v18, s0, s29, v18, s0
	s_delay_alu instid0(VALU_DEP_2) | instskip(NEXT) | instid1(VALU_DEP_1)
	v_add_co_u32 v17, s0, v17, v20
	v_add_co_ci_u32_e64 v18, s0, v18, v21, s0
	v_and_b32_e32 v21, 0xffff0000, v19
	global_load_b32 v20, v[17:18], off offset:32
	s_branch .LBB13_395
.LBB13_394:                             ;   in Loop: Header=BB13_395 Depth=1
	s_or_b32 exec_lo, exec_lo, s5
	v_lshrrev_b32_e32 v19, 16, v19
	s_delay_alu instid0(VALU_DEP_1) | instskip(SKIP_4) | instid1(VALU_DEP_2)
	v_and_or_b32 v19, 0xffff0000, v26, v19
	global_atomic_cmpswap_b32 v19, v[17:18], v[19:20], off offset:32 glc
	s_waitcnt vmcnt(0)
	v_cmp_eq_u32_e64 s0, v19, v20
	v_mov_b32_e32 v20, v19
	s_or_b32 s1, s0, s1
	s_delay_alu instid0(SALU_CYCLE_1)
	s_and_not1_b32 exec_lo, exec_lo, s1
	s_cbranch_execz .LBB13_403
.LBB13_395:                             ; =>This Inner Loop Header: Depth=1
	s_waitcnt vmcnt(0)
	v_lshlrev_b32_e32 v19, 16, v20
	s_delay_alu instid0(VALU_DEP_1) | instskip(NEXT) | instid1(VALU_DEP_1)
	v_add_f32_e32 v25, v21, v19
	v_and_b32_e32 v19, 0x7f800000, v25
	s_delay_alu instid0(VALU_DEP_1) | instskip(NEXT) | instid1(VALU_DEP_1)
	v_cmp_ne_u32_e64 s0, 0x7f800000, v19
                                        ; implicit-def: $vgpr19
	s_and_saveexec_b32 s5, s0
	s_delay_alu instid0(SALU_CYCLE_1)
	s_xor_b32 s0, exec_lo, s5
; %bb.396:                              ;   in Loop: Header=BB13_395 Depth=1
	v_bfe_u32 v19, v25, 16, 1
	s_delay_alu instid0(VALU_DEP_1)
	v_add3_u32 v19, v25, v19, 0x7fff
                                        ; implicit-def: $vgpr25
; %bb.397:                              ;   in Loop: Header=BB13_395 Depth=1
	s_and_not1_saveexec_b32 s5, s0
; %bb.398:                              ;   in Loop: Header=BB13_395 Depth=1
	v_and_b32_e32 v19, 0xffff, v25
	v_or_b32_e32 v26, 0x10000, v25
	s_delay_alu instid0(VALU_DEP_2) | instskip(NEXT) | instid1(VALU_DEP_1)
	v_cmp_eq_u32_e64 s0, 0, v19
	v_cndmask_b32_e64 v19, v26, v25, s0
; %bb.399:                              ;   in Loop: Header=BB13_395 Depth=1
	s_or_b32 exec_lo, exec_lo, s5
	v_and_b32_e32 v25, 0xffff0000, v20
	s_delay_alu instid0(VALU_DEP_1) | instskip(NEXT) | instid1(VALU_DEP_1)
	v_add_f32_e32 v25, v22, v25
	v_and_b32_e32 v26, 0x7f800000, v25
	s_delay_alu instid0(VALU_DEP_1) | instskip(NEXT) | instid1(VALU_DEP_1)
	v_cmp_ne_u32_e64 s0, 0x7f800000, v26
                                        ; implicit-def: $vgpr26
	s_and_saveexec_b32 s5, s0
	s_delay_alu instid0(SALU_CYCLE_1)
	s_xor_b32 s0, exec_lo, s5
; %bb.400:                              ;   in Loop: Header=BB13_395 Depth=1
	v_bfe_u32 v26, v25, 16, 1
	s_delay_alu instid0(VALU_DEP_1)
	v_add3_u32 v26, v25, v26, 0x7fff
                                        ; implicit-def: $vgpr25
; %bb.401:                              ;   in Loop: Header=BB13_395 Depth=1
	s_and_not1_saveexec_b32 s5, s0
	s_cbranch_execz .LBB13_394
; %bb.402:                              ;   in Loop: Header=BB13_395 Depth=1
	v_and_b32_e32 v26, 0xffff, v25
	v_or_b32_e32 v27, 0x10000, v25
	s_delay_alu instid0(VALU_DEP_2) | instskip(NEXT) | instid1(VALU_DEP_1)
	v_cmp_eq_u32_e64 s0, 0, v26
	v_cndmask_b32_e64 v26, v27, v25, s0
	s_branch .LBB13_394
.LBB13_403:
	s_or_b32 exec_lo, exec_lo, s4
	s_waitcnt lgkmcnt(0)
	ds_bpermute_b32 v18, v30, v23
	s_and_saveexec_b32 s4, vcc_lo
	s_cbranch_execz .LBB13_423
; %bb.404:
	v_or3_b32 v17, v46, v39, 12
	v_cmp_gt_i32_e64 s1, s21, v29
	s_delay_alu instid0(VALU_DEP_2) | instskip(NEXT) | instid1(VALU_DEP_1)
	v_cmp_gt_i32_e64 s0, s20, v17
	s_and_b32 s0, s0, s1
	s_delay_alu instid0(SALU_CYCLE_1)
	s_and_b32 exec_lo, exec_lo, s0
	s_cbranch_execz .LBB13_423
; %bb.405:
	v_and_b32_e32 v19, 0x7f800000, v23
	s_delay_alu instid0(VALU_DEP_1) | instskip(NEXT) | instid1(VALU_DEP_1)
	v_cmp_ne_u32_e64 s0, 0x7f800000, v19
                                        ; implicit-def: $vgpr19
	s_and_saveexec_b32 s1, s0
	s_delay_alu instid0(SALU_CYCLE_1)
	s_xor_b32 s0, exec_lo, s1
; %bb.406:
	v_bfe_u32 v19, v23, 16, 1
	s_delay_alu instid0(VALU_DEP_1)
	v_add3_u32 v19, v23, v19, 0x7fff
; %bb.407:
	s_and_not1_saveexec_b32 s1, s0
; %bb.408:
	v_and_b32_e32 v19, 0xffff, v23
	v_or_b32_e32 v20, 0x10000, v23
	s_delay_alu instid0(VALU_DEP_2) | instskip(NEXT) | instid1(VALU_DEP_1)
	v_cmp_eq_u32_e64 s0, 0, v19
	v_cndmask_b32_e64 v19, v20, v23, s0
; %bb.409:
	s_or_b32 exec_lo, exec_lo, s1
	s_waitcnt lgkmcnt(0)
	v_and_b32_e32 v20, 0x7f800000, v18
                                        ; implicit-def: $vgpr22
	s_delay_alu instid0(VALU_DEP_1) | instskip(NEXT) | instid1(VALU_DEP_1)
	v_cmp_ne_u32_e64 s0, 0x7f800000, v20
	s_and_saveexec_b32 s1, s0
	s_delay_alu instid0(SALU_CYCLE_1)
	s_xor_b32 s0, exec_lo, s1
; %bb.410:
	v_bfe_u32 v20, v18, 16, 1
	s_delay_alu instid0(VALU_DEP_1)
	v_add3_u32 v22, v18, v20, 0x7fff
                                        ; implicit-def: $vgpr18
; %bb.411:
	s_and_not1_saveexec_b32 s1, s0
; %bb.412:
	v_and_b32_e32 v20, 0xffff, v18
	v_or_b32_e32 v21, 0x10000, v18
	s_delay_alu instid0(VALU_DEP_2) | instskip(NEXT) | instid1(VALU_DEP_1)
	v_cmp_eq_u32_e64 s0, 0, v20
	v_cndmask_b32_e64 v22, v21, v18, s0
; %bb.413:
	s_or_b32 exec_lo, exec_lo, s1
	v_mul_lo_u32 v17, v17, s21
	s_ashr_i32 s0, s3, 31
	v_add_co_u32 v20, s1, s3, v45
	s_delay_alu instid0(VALU_DEP_1) | instskip(SKIP_2) | instid1(VALU_DEP_4)
	v_add_co_ci_u32_e64 v21, null, s0, 0, s1
	v_and_b32_e32 v22, 0xffff0000, v22
	s_mov_b32 s1, 0
	v_ashrrev_i32_e32 v18, 31, v17
	s_delay_alu instid0(VALU_DEP_3) | instskip(NEXT) | instid1(VALU_DEP_2)
	v_lshlrev_b64 v[20:21], 1, v[20:21]
	v_lshlrev_b64 v[17:18], 1, v[17:18]
	s_delay_alu instid0(VALU_DEP_1) | instskip(NEXT) | instid1(VALU_DEP_1)
	v_add_co_u32 v17, s0, s28, v17
	v_add_co_ci_u32_e64 v18, s0, s29, v18, s0
	s_delay_alu instid0(VALU_DEP_2) | instskip(NEXT) | instid1(VALU_DEP_1)
	v_add_co_u32 v17, s0, v17, v20
	v_add_co_ci_u32_e64 v18, s0, v18, v21, s0
	v_and_b32_e32 v21, 0xffff0000, v19
	global_load_b32 v20, v[17:18], off offset:32
	s_branch .LBB13_415
.LBB13_414:                             ;   in Loop: Header=BB13_415 Depth=1
	s_or_b32 exec_lo, exec_lo, s5
	v_lshrrev_b32_e32 v19, 16, v19
	s_delay_alu instid0(VALU_DEP_1) | instskip(SKIP_4) | instid1(VALU_DEP_2)
	v_and_or_b32 v19, 0xffff0000, v25, v19
	global_atomic_cmpswap_b32 v19, v[17:18], v[19:20], off offset:32 glc
	s_waitcnt vmcnt(0)
	v_cmp_eq_u32_e64 s0, v19, v20
	v_mov_b32_e32 v20, v19
	s_or_b32 s1, s0, s1
	s_delay_alu instid0(SALU_CYCLE_1)
	s_and_not1_b32 exec_lo, exec_lo, s1
	s_cbranch_execz .LBB13_423
.LBB13_415:                             ; =>This Inner Loop Header: Depth=1
	s_waitcnt vmcnt(0)
	v_lshlrev_b32_e32 v19, 16, v20
	s_delay_alu instid0(VALU_DEP_1) | instskip(NEXT) | instid1(VALU_DEP_1)
	v_add_f32_e32 v23, v21, v19
	v_and_b32_e32 v19, 0x7f800000, v23
	s_delay_alu instid0(VALU_DEP_1) | instskip(NEXT) | instid1(VALU_DEP_1)
	v_cmp_ne_u32_e64 s0, 0x7f800000, v19
                                        ; implicit-def: $vgpr19
	s_and_saveexec_b32 s5, s0
	s_delay_alu instid0(SALU_CYCLE_1)
	s_xor_b32 s0, exec_lo, s5
; %bb.416:                              ;   in Loop: Header=BB13_415 Depth=1
	v_bfe_u32 v19, v23, 16, 1
	s_delay_alu instid0(VALU_DEP_1)
	v_add3_u32 v19, v23, v19, 0x7fff
                                        ; implicit-def: $vgpr23
; %bb.417:                              ;   in Loop: Header=BB13_415 Depth=1
	s_and_not1_saveexec_b32 s5, s0
; %bb.418:                              ;   in Loop: Header=BB13_415 Depth=1
	v_and_b32_e32 v19, 0xffff, v23
	v_or_b32_e32 v25, 0x10000, v23
	s_delay_alu instid0(VALU_DEP_2) | instskip(NEXT) | instid1(VALU_DEP_1)
	v_cmp_eq_u32_e64 s0, 0, v19
	v_cndmask_b32_e64 v19, v25, v23, s0
; %bb.419:                              ;   in Loop: Header=BB13_415 Depth=1
	s_or_b32 exec_lo, exec_lo, s5
	v_and_b32_e32 v23, 0xffff0000, v20
	s_delay_alu instid0(VALU_DEP_1) | instskip(NEXT) | instid1(VALU_DEP_1)
	v_add_f32_e32 v23, v22, v23
	v_and_b32_e32 v25, 0x7f800000, v23
	s_delay_alu instid0(VALU_DEP_1) | instskip(NEXT) | instid1(VALU_DEP_1)
	v_cmp_ne_u32_e64 s0, 0x7f800000, v25
                                        ; implicit-def: $vgpr25
	s_and_saveexec_b32 s5, s0
	s_delay_alu instid0(SALU_CYCLE_1)
	s_xor_b32 s0, exec_lo, s5
; %bb.420:                              ;   in Loop: Header=BB13_415 Depth=1
	v_bfe_u32 v25, v23, 16, 1
	s_delay_alu instid0(VALU_DEP_1)
	v_add3_u32 v25, v23, v25, 0x7fff
                                        ; implicit-def: $vgpr23
; %bb.421:                              ;   in Loop: Header=BB13_415 Depth=1
	s_and_not1_saveexec_b32 s5, s0
	s_cbranch_execz .LBB13_414
; %bb.422:                              ;   in Loop: Header=BB13_415 Depth=1
	v_and_b32_e32 v25, 0xffff, v23
	v_or_b32_e32 v26, 0x10000, v23
	s_delay_alu instid0(VALU_DEP_2) | instskip(NEXT) | instid1(VALU_DEP_1)
	v_cmp_eq_u32_e64 s0, 0, v25
	v_cndmask_b32_e64 v25, v26, v23, s0
	s_branch .LBB13_414
.LBB13_423:
	s_or_b32 exec_lo, exec_lo, s4
	ds_bpermute_b32 v27, v30, v24
	s_and_saveexec_b32 s1, vcc_lo
	s_cbranch_execz .LBB13_443
; %bb.424:
	v_or3_b32 v26, v46, v39, 14
	v_cmp_gt_i32_e64 s0, s21, v29
	s_delay_alu instid0(VALU_DEP_2) | instskip(NEXT) | instid1(VALU_DEP_2)
	v_cmp_gt_i32_e32 vcc_lo, s20, v26
	s_and_b32 s0, vcc_lo, s0
	s_delay_alu instid0(SALU_CYCLE_1)
	s_and_b32 exec_lo, exec_lo, s0
	s_cbranch_execz .LBB13_443
; %bb.425:
	v_and_b32_e32 v17, 0x7f800000, v24
	s_mov_b32 s0, exec_lo
                                        ; implicit-def: $vgpr25
	s_delay_alu instid0(VALU_DEP_1)
	v_cmpx_ne_u32_e32 0x7f800000, v17
	s_xor_b32 s0, exec_lo, s0
; %bb.426:
	v_bfe_u32 v17, v24, 16, 1
	s_delay_alu instid0(VALU_DEP_1)
	v_add3_u32 v25, v24, v17, 0x7fff
                                        ; implicit-def: $vgpr17_vgpr18_vgpr19_vgpr20_vgpr21_vgpr22_vgpr23_vgpr24
; %bb.427:
	s_and_not1_saveexec_b32 s0, s0
	s_cbranch_execz .LBB13_429
; %bb.428:
	v_and_b32_e32 v17, 0xffff, v24
	s_waitcnt lgkmcnt(1)
	v_or_b32_e32 v18, 0x10000, v24
	s_delay_alu instid0(VALU_DEP_2) | instskip(NEXT) | instid1(VALU_DEP_2)
	v_cmp_eq_u32_e32 vcc_lo, 0, v17
	v_cndmask_b32_e32 v25, v18, v24, vcc_lo
.LBB13_429:
	s_or_b32 exec_lo, exec_lo, s0
	s_waitcnt lgkmcnt(0)
	v_and_b32_e32 v17, 0x7f800000, v27
	s_mov_b32 s0, exec_lo
                                        ; implicit-def: $vgpr19
	s_delay_alu instid0(VALU_DEP_1)
	v_cmpx_ne_u32_e32 0x7f800000, v17
	s_xor_b32 s0, exec_lo, s0
; %bb.430:
	v_bfe_u32 v17, v27, 16, 1
	s_delay_alu instid0(VALU_DEP_1)
	v_add3_u32 v19, v27, v17, 0x7fff
                                        ; implicit-def: $vgpr27
; %bb.431:
	s_and_not1_saveexec_b32 s0, s0
; %bb.432:
	v_and_b32_e32 v17, 0xffff, v27
	v_or_b32_e32 v18, 0x10000, v27
	s_delay_alu instid0(VALU_DEP_2) | instskip(NEXT) | instid1(VALU_DEP_2)
	v_cmp_eq_u32_e32 vcc_lo, 0, v17
	v_cndmask_b32_e32 v19, v18, v27, vcc_lo
; %bb.433:
	s_or_b32 exec_lo, exec_lo, s0
	v_mul_lo_u32 v17, v26, s21
	s_ashr_i32 s0, s3, 31
	v_add_co_u32 v20, s4, s3, v45
	s_delay_alu instid0(VALU_DEP_1) | instskip(SKIP_2) | instid1(VALU_DEP_4)
	v_add_co_ci_u32_e64 v21, null, s0, 0, s4
	v_and_b32_e32 v22, 0xffff0000, v19
	s_mov_b32 s0, 0
	v_ashrrev_i32_e32 v18, 31, v17
	s_delay_alu instid0(VALU_DEP_3) | instskip(NEXT) | instid1(VALU_DEP_2)
	v_lshlrev_b64 v[20:21], 1, v[20:21]
	v_lshlrev_b64 v[17:18], 1, v[17:18]
	s_delay_alu instid0(VALU_DEP_1) | instskip(NEXT) | instid1(VALU_DEP_2)
	v_add_co_u32 v17, vcc_lo, s28, v17
	v_add_co_ci_u32_e32 v18, vcc_lo, s29, v18, vcc_lo
	s_delay_alu instid0(VALU_DEP_2) | instskip(NEXT) | instid1(VALU_DEP_2)
	v_add_co_u32 v17, vcc_lo, v17, v20
	v_add_co_ci_u32_e32 v18, vcc_lo, v18, v21, vcc_lo
	v_and_b32_e32 v21, 0xffff0000, v25
	global_load_b32 v20, v[17:18], off offset:32
	s_branch .LBB13_435
.LBB13_434:                             ;   in Loop: Header=BB13_435 Depth=1
	s_or_b32 exec_lo, exec_lo, s4
	v_lshrrev_b32_e32 v19, 16, v19
	s_delay_alu instid0(VALU_DEP_1)
	v_and_or_b32 v19, 0xffff0000, v24, v19
	global_atomic_cmpswap_b32 v19, v[17:18], v[19:20], off offset:32 glc
	s_waitcnt vmcnt(0)
	v_cmp_eq_u32_e32 vcc_lo, v19, v20
	v_mov_b32_e32 v20, v19
	s_or_b32 s0, vcc_lo, s0
	s_delay_alu instid0(SALU_CYCLE_1)
	s_and_not1_b32 exec_lo, exec_lo, s0
	s_cbranch_execz .LBB13_443
.LBB13_435:                             ; =>This Inner Loop Header: Depth=1
	s_waitcnt vmcnt(0)
	v_lshlrev_b32_e32 v19, 16, v20
	s_delay_alu instid0(VALU_DEP_1) | instskip(NEXT) | instid1(VALU_DEP_1)
	v_add_f32_e32 v23, v21, v19
	v_and_b32_e32 v19, 0x7f800000, v23
	s_delay_alu instid0(VALU_DEP_1) | instskip(SKIP_1) | instid1(SALU_CYCLE_1)
	v_cmp_ne_u32_e32 vcc_lo, 0x7f800000, v19
                                        ; implicit-def: $vgpr19
	s_and_saveexec_b32 s4, vcc_lo
	s_xor_b32 s4, exec_lo, s4
; %bb.436:                              ;   in Loop: Header=BB13_435 Depth=1
	v_bfe_u32 v19, v23, 16, 1
	s_delay_alu instid0(VALU_DEP_1)
	v_add3_u32 v19, v23, v19, 0x7fff
                                        ; implicit-def: $vgpr23
; %bb.437:                              ;   in Loop: Header=BB13_435 Depth=1
	s_and_not1_saveexec_b32 s4, s4
; %bb.438:                              ;   in Loop: Header=BB13_435 Depth=1
	v_and_b32_e32 v19, 0xffff, v23
	v_or_b32_e32 v24, 0x10000, v23
	s_delay_alu instid0(VALU_DEP_2) | instskip(NEXT) | instid1(VALU_DEP_2)
	v_cmp_eq_u32_e32 vcc_lo, 0, v19
	v_cndmask_b32_e32 v19, v24, v23, vcc_lo
; %bb.439:                              ;   in Loop: Header=BB13_435 Depth=1
	s_or_b32 exec_lo, exec_lo, s4
	v_and_b32_e32 v23, 0xffff0000, v20
	s_delay_alu instid0(VALU_DEP_1) | instskip(NEXT) | instid1(VALU_DEP_1)
	v_add_f32_e32 v23, v22, v23
	v_and_b32_e32 v24, 0x7f800000, v23
	s_delay_alu instid0(VALU_DEP_1) | instskip(SKIP_1) | instid1(SALU_CYCLE_1)
	v_cmp_ne_u32_e32 vcc_lo, 0x7f800000, v24
                                        ; implicit-def: $vgpr24
	s_and_saveexec_b32 s4, vcc_lo
	s_xor_b32 s4, exec_lo, s4
; %bb.440:                              ;   in Loop: Header=BB13_435 Depth=1
	v_bfe_u32 v24, v23, 16, 1
	s_delay_alu instid0(VALU_DEP_1)
	v_add3_u32 v24, v23, v24, 0x7fff
                                        ; implicit-def: $vgpr23
; %bb.441:                              ;   in Loop: Header=BB13_435 Depth=1
	s_and_not1_saveexec_b32 s4, s4
	s_cbranch_execz .LBB13_434
; %bb.442:                              ;   in Loop: Header=BB13_435 Depth=1
	v_and_b32_e32 v24, 0xffff, v23
	v_or_b32_e32 v25, 0x10000, v23
	s_delay_alu instid0(VALU_DEP_2) | instskip(NEXT) | instid1(VALU_DEP_2)
	v_cmp_eq_u32_e32 vcc_lo, 0, v24
	v_cndmask_b32_e32 v24, v25, v23, vcc_lo
	s_branch .LBB13_434
.LBB13_443:
	s_or_b32 exec_lo, exec_lo, s1
.LBB13_444:
	s_or_b32 s0, s3, 32
	s_and_b32 vcc_lo, exec_lo, s2
	v_or_b32_e32 v21, s0, v45
	s_mov_b32 s1, -1
	s_delay_alu instid0(VALU_DEP_1)
	v_cmp_gt_i32_e64 s0, s21, v21
	s_cbranch_vccz .LBB13_495
; %bb.445:
	s_delay_alu instid0(VALU_DEP_1)
	s_and_saveexec_b32 s1, s0
	s_cbranch_execz .LBB13_494
; %bb.446:
	v_or_b32_e32 v17, v39, v46
	s_mov_b32 s0, exec_lo
	s_delay_alu instid0(VALU_DEP_1)
	v_cmpx_gt_i32_e64 s20, v17
	s_cbranch_execz .LBB13_452
; %bb.447:
	s_waitcnt lgkmcnt(0)
	v_and_b32_e32 v18, 0x7f800000, v9
	s_delay_alu instid0(VALU_DEP_1) | instskip(SKIP_1) | instid1(SALU_CYCLE_1)
	v_cmp_ne_u32_e32 vcc_lo, 0x7f800000, v18
                                        ; implicit-def: $vgpr18
	s_and_saveexec_b32 s4, vcc_lo
	s_xor_b32 s4, exec_lo, s4
; %bb.448:
	v_bfe_u32 v18, v9, 16, 1
	s_delay_alu instid0(VALU_DEP_1)
	v_add3_u32 v18, v9, v18, 0x7fff
; %bb.449:
	s_and_not1_saveexec_b32 s4, s4
; %bb.450:
	v_and_b32_e32 v18, 0xffff, v9
	v_or_b32_e32 v19, 0x10000, v9
	s_delay_alu instid0(VALU_DEP_2) | instskip(NEXT) | instid1(VALU_DEP_2)
	v_cmp_eq_u32_e32 vcc_lo, 0, v18
	v_cndmask_b32_e32 v18, v19, v9, vcc_lo
; %bb.451:
	s_or_b32 exec_lo, exec_lo, s4
	v_mul_lo_u32 v19, v17, s21
	s_ashr_i32 s4, s3, 31
	v_add_co_u32 v22, s5, s3, v45
	s_delay_alu instid0(VALU_DEP_1) | instskip(NEXT) | instid1(VALU_DEP_3)
	v_add_co_ci_u32_e64 v23, null, s4, 0, s5
	v_ashrrev_i32_e32 v20, 31, v19
	s_delay_alu instid0(VALU_DEP_2) | instskip(NEXT) | instid1(VALU_DEP_2)
	v_lshlrev_b64 v[22:23], 1, v[22:23]
	v_lshlrev_b64 v[19:20], 1, v[19:20]
	s_delay_alu instid0(VALU_DEP_1) | instskip(NEXT) | instid1(VALU_DEP_2)
	v_add_co_u32 v19, vcc_lo, s28, v19
	v_add_co_ci_u32_e32 v20, vcc_lo, s29, v20, vcc_lo
	s_delay_alu instid0(VALU_DEP_2) | instskip(NEXT) | instid1(VALU_DEP_2)
	v_add_co_u32 v19, vcc_lo, v19, v22
	v_add_co_ci_u32_e32 v20, vcc_lo, v20, v23, vcc_lo
	global_store_d16_hi_b16 v[19:20], v18, off offset:64
.LBB13_452:
	s_or_b32 exec_lo, exec_lo, s0
	v_or_b32_e32 v19, 2, v17
	s_mov_b32 s0, exec_lo
	s_delay_alu instid0(VALU_DEP_1)
	v_cmpx_gt_i32_e64 s20, v19
	s_cbranch_execz .LBB13_458
; %bb.453:
	s_waitcnt lgkmcnt(0)
	v_and_b32_e32 v18, 0x7f800000, v10
	s_delay_alu instid0(VALU_DEP_1) | instskip(SKIP_1) | instid1(SALU_CYCLE_1)
	v_cmp_ne_u32_e32 vcc_lo, 0x7f800000, v18
                                        ; implicit-def: $vgpr18
	s_and_saveexec_b32 s4, vcc_lo
	s_xor_b32 s4, exec_lo, s4
; %bb.454:
	v_bfe_u32 v18, v10, 16, 1
	s_delay_alu instid0(VALU_DEP_1)
	v_add3_u32 v18, v10, v18, 0x7fff
; %bb.455:
	s_and_not1_saveexec_b32 s4, s4
; %bb.456:
	v_and_b32_e32 v18, 0xffff, v10
	v_or_b32_e32 v20, 0x10000, v10
	s_delay_alu instid0(VALU_DEP_2) | instskip(NEXT) | instid1(VALU_DEP_2)
	v_cmp_eq_u32_e32 vcc_lo, 0, v18
	v_cndmask_b32_e32 v18, v20, v10, vcc_lo
; %bb.457:
	s_or_b32 exec_lo, exec_lo, s4
	v_mul_lo_u32 v19, v19, s21
	s_ashr_i32 s4, s3, 31
	v_add_co_u32 v22, s5, s3, v45
	s_delay_alu instid0(VALU_DEP_1) | instskip(NEXT) | instid1(VALU_DEP_3)
	v_add_co_ci_u32_e64 v23, null, s4, 0, s5
	v_ashrrev_i32_e32 v20, 31, v19
	s_delay_alu instid0(VALU_DEP_2) | instskip(NEXT) | instid1(VALU_DEP_2)
	v_lshlrev_b64 v[22:23], 1, v[22:23]
	v_lshlrev_b64 v[19:20], 1, v[19:20]
	s_delay_alu instid0(VALU_DEP_1) | instskip(NEXT) | instid1(VALU_DEP_2)
	v_add_co_u32 v19, vcc_lo, s28, v19
	v_add_co_ci_u32_e32 v20, vcc_lo, s29, v20, vcc_lo
	s_delay_alu instid0(VALU_DEP_2) | instskip(NEXT) | instid1(VALU_DEP_2)
	v_add_co_u32 v19, vcc_lo, v19, v22
	v_add_co_ci_u32_e32 v20, vcc_lo, v20, v23, vcc_lo
	global_store_d16_hi_b16 v[19:20], v18, off offset:64
.LBB13_458:
	s_or_b32 exec_lo, exec_lo, s0
	;; [unrolled: 45-line block ×7, first 2 shown]
	s_waitcnt lgkmcnt(0)
	v_or_b32_e32 v18, 14, v17
	s_delay_alu instid0(VALU_DEP_1)
	v_cmp_gt_i32_e32 vcc_lo, s20, v18
	s_and_b32 exec_lo, exec_lo, vcc_lo
	s_cbranch_execz .LBB13_494
; %bb.489:
	v_and_b32_e32 v17, 0x7f800000, v16
	s_delay_alu instid0(VALU_DEP_1) | instskip(SKIP_1) | instid1(SALU_CYCLE_1)
	v_cmp_ne_u32_e32 vcc_lo, 0x7f800000, v17
                                        ; implicit-def: $vgpr17
	s_and_saveexec_b32 s0, vcc_lo
	s_xor_b32 s0, exec_lo, s0
; %bb.490:
	v_bfe_u32 v17, v16, 16, 1
	s_delay_alu instid0(VALU_DEP_1)
	v_add3_u32 v17, v16, v17, 0x7fff
; %bb.491:
	s_and_not1_saveexec_b32 s0, s0
; %bb.492:
	v_and_b32_e32 v17, 0xffff, v16
	v_or_b32_e32 v19, 0x10000, v16
	s_delay_alu instid0(VALU_DEP_2) | instskip(NEXT) | instid1(VALU_DEP_2)
	v_cmp_eq_u32_e32 vcc_lo, 0, v17
	v_cndmask_b32_e32 v17, v19, v16, vcc_lo
; %bb.493:
	s_or_b32 exec_lo, exec_lo, s0
	v_mul_lo_u32 v18, v18, s21
	s_ashr_i32 s0, s3, 31
	v_add_co_u32 v22, s4, s3, v45
	s_delay_alu instid0(VALU_DEP_1) | instskip(NEXT) | instid1(VALU_DEP_3)
	v_add_co_ci_u32_e64 v23, null, s0, 0, s4
	v_ashrrev_i32_e32 v19, 31, v18
	s_delay_alu instid0(VALU_DEP_2) | instskip(NEXT) | instid1(VALU_DEP_2)
	v_lshlrev_b64 v[22:23], 1, v[22:23]
	v_lshlrev_b64 v[18:19], 1, v[18:19]
	s_delay_alu instid0(VALU_DEP_1) | instskip(NEXT) | instid1(VALU_DEP_2)
	v_add_co_u32 v18, vcc_lo, s28, v18
	v_add_co_ci_u32_e32 v19, vcc_lo, s29, v19, vcc_lo
	s_delay_alu instid0(VALU_DEP_2) | instskip(NEXT) | instid1(VALU_DEP_2)
	v_add_co_u32 v18, vcc_lo, v18, v22
	v_add_co_ci_u32_e32 v19, vcc_lo, v19, v23, vcc_lo
	global_store_d16_hi_b16 v[18:19], v17, off offset:64
.LBB13_494:
	s_or_b32 exec_lo, exec_lo, s1
	s_mov_b32 s1, 0
.LBB13_495:
	s_delay_alu instid0(SALU_CYCLE_1)
	s_and_not1_b32 vcc_lo, exec_lo, s1
	s_cbranch_vccnz .LBB13_657
; %bb.496:
	v_xor_b32_e32 v17, 1, v40
	s_delay_alu instid0(VALU_DEP_1) | instskip(SKIP_2) | instid1(VALU_DEP_2)
	v_cmp_gt_i32_e32 vcc_lo, 32, v17
	v_cndmask_b32_e32 v17, v40, v17, vcc_lo
	v_cmp_eq_u32_e32 vcc_lo, 0, v0
	v_lshlrev_b32_e32 v22, 2, v17
	s_waitcnt lgkmcnt(0)
	ds_bpermute_b32 v18, v22, v9
	s_and_saveexec_b32 s4, vcc_lo
	s_cbranch_execz .LBB13_516
; %bb.497:
	v_or_b32_e32 v17, v39, v46
	v_cmp_gt_i32_e64 s1, s21, v21
	s_delay_alu instid0(VALU_DEP_2) | instskip(NEXT) | instid1(VALU_DEP_1)
	v_cmp_gt_i32_e64 s0, s20, v17
	s_and_b32 s0, s0, s1
	s_delay_alu instid0(SALU_CYCLE_1)
	s_and_b32 exec_lo, exec_lo, s0
	s_cbranch_execz .LBB13_516
; %bb.498:
	v_and_b32_e32 v19, 0x7f800000, v9
	s_delay_alu instid0(VALU_DEP_1) | instskip(NEXT) | instid1(VALU_DEP_1)
	v_cmp_ne_u32_e64 s0, 0x7f800000, v19
                                        ; implicit-def: $vgpr19
	s_and_saveexec_b32 s1, s0
	s_delay_alu instid0(SALU_CYCLE_1)
	s_xor_b32 s0, exec_lo, s1
; %bb.499:
	v_bfe_u32 v19, v9, 16, 1
	s_delay_alu instid0(VALU_DEP_1)
	v_add3_u32 v19, v9, v19, 0x7fff
; %bb.500:
	s_and_not1_saveexec_b32 s1, s0
; %bb.501:
	v_and_b32_e32 v19, 0xffff, v9
	v_or_b32_e32 v20, 0x10000, v9
	s_delay_alu instid0(VALU_DEP_2) | instskip(NEXT) | instid1(VALU_DEP_1)
	v_cmp_eq_u32_e64 s0, 0, v19
	v_cndmask_b32_e64 v19, v20, v9, s0
; %bb.502:
	s_or_b32 exec_lo, exec_lo, s1
	s_waitcnt lgkmcnt(0)
	v_and_b32_e32 v9, 0x7f800000, v18
                                        ; implicit-def: $vgpr23
	s_delay_alu instid0(VALU_DEP_1) | instskip(NEXT) | instid1(VALU_DEP_1)
	v_cmp_ne_u32_e64 s0, 0x7f800000, v9
	s_and_saveexec_b32 s1, s0
	s_delay_alu instid0(SALU_CYCLE_1)
	s_xor_b32 s0, exec_lo, s1
; %bb.503:
	v_bfe_u32 v9, v18, 16, 1
	s_delay_alu instid0(VALU_DEP_1)
	v_add3_u32 v23, v18, v9, 0x7fff
                                        ; implicit-def: $vgpr18
; %bb.504:
	s_and_not1_saveexec_b32 s1, s0
; %bb.505:
	v_and_b32_e32 v9, 0xffff, v18
	v_or_b32_e32 v20, 0x10000, v18
	s_delay_alu instid0(VALU_DEP_2) | instskip(NEXT) | instid1(VALU_DEP_1)
	v_cmp_eq_u32_e64 s0, 0, v9
	v_cndmask_b32_e64 v23, v20, v18, s0
; %bb.506:
	s_or_b32 exec_lo, exec_lo, s1
	v_mul_lo_u32 v17, v17, s21
	s_ashr_i32 s0, s3, 31
	v_add_co_u32 v24, s1, s3, v45
	s_delay_alu instid0(VALU_DEP_1) | instskip(SKIP_2) | instid1(VALU_DEP_4)
	v_add_co_ci_u32_e64 v25, null, s0, 0, s1
	v_and_b32_e32 v23, 0xffff0000, v23
	s_mov_b32 s1, 0
	v_ashrrev_i32_e32 v18, 31, v17
	s_delay_alu instid0(VALU_DEP_3) | instskip(NEXT) | instid1(VALU_DEP_2)
	v_lshlrev_b64 v[24:25], 1, v[24:25]
	v_lshlrev_b64 v[17:18], 1, v[17:18]
	s_delay_alu instid0(VALU_DEP_1) | instskip(NEXT) | instid1(VALU_DEP_1)
	v_add_co_u32 v9, s0, s28, v17
	v_add_co_ci_u32_e64 v18, s0, s29, v18, s0
	s_delay_alu instid0(VALU_DEP_2) | instskip(NEXT) | instid1(VALU_DEP_1)
	v_add_co_u32 v17, s0, v9, v24
	v_add_co_ci_u32_e64 v18, s0, v18, v25, s0
	v_and_b32_e32 v9, 0xffff0000, v19
	global_load_b32 v20, v[17:18], off offset:64
	s_branch .LBB13_508
.LBB13_507:                             ;   in Loop: Header=BB13_508 Depth=1
	s_or_b32 exec_lo, exec_lo, s5
	v_lshrrev_b32_e32 v19, 16, v19
	s_delay_alu instid0(VALU_DEP_1) | instskip(SKIP_4) | instid1(VALU_DEP_2)
	v_and_or_b32 v19, 0xffff0000, v25, v19
	global_atomic_cmpswap_b32 v19, v[17:18], v[19:20], off offset:64 glc
	s_waitcnt vmcnt(0)
	v_cmp_eq_u32_e64 s0, v19, v20
	v_mov_b32_e32 v20, v19
	s_or_b32 s1, s0, s1
	s_delay_alu instid0(SALU_CYCLE_1)
	s_and_not1_b32 exec_lo, exec_lo, s1
	s_cbranch_execz .LBB13_516
.LBB13_508:                             ; =>This Inner Loop Header: Depth=1
	s_waitcnt vmcnt(0)
	v_lshlrev_b32_e32 v19, 16, v20
	s_delay_alu instid0(VALU_DEP_1) | instskip(NEXT) | instid1(VALU_DEP_1)
	v_add_f32_e32 v24, v9, v19
	v_and_b32_e32 v19, 0x7f800000, v24
	s_delay_alu instid0(VALU_DEP_1) | instskip(NEXT) | instid1(VALU_DEP_1)
	v_cmp_ne_u32_e64 s0, 0x7f800000, v19
                                        ; implicit-def: $vgpr19
	s_and_saveexec_b32 s5, s0
	s_delay_alu instid0(SALU_CYCLE_1)
	s_xor_b32 s0, exec_lo, s5
; %bb.509:                              ;   in Loop: Header=BB13_508 Depth=1
	v_bfe_u32 v19, v24, 16, 1
	s_delay_alu instid0(VALU_DEP_1)
	v_add3_u32 v19, v24, v19, 0x7fff
                                        ; implicit-def: $vgpr24
; %bb.510:                              ;   in Loop: Header=BB13_508 Depth=1
	s_and_not1_saveexec_b32 s5, s0
; %bb.511:                              ;   in Loop: Header=BB13_508 Depth=1
	v_and_b32_e32 v19, 0xffff, v24
	v_or_b32_e32 v25, 0x10000, v24
	s_delay_alu instid0(VALU_DEP_2) | instskip(NEXT) | instid1(VALU_DEP_1)
	v_cmp_eq_u32_e64 s0, 0, v19
	v_cndmask_b32_e64 v19, v25, v24, s0
; %bb.512:                              ;   in Loop: Header=BB13_508 Depth=1
	s_or_b32 exec_lo, exec_lo, s5
	v_and_b32_e32 v24, 0xffff0000, v20
	s_delay_alu instid0(VALU_DEP_1) | instskip(NEXT) | instid1(VALU_DEP_1)
	v_add_f32_e32 v24, v23, v24
	v_and_b32_e32 v25, 0x7f800000, v24
	s_delay_alu instid0(VALU_DEP_1) | instskip(NEXT) | instid1(VALU_DEP_1)
	v_cmp_ne_u32_e64 s0, 0x7f800000, v25
                                        ; implicit-def: $vgpr25
	s_and_saveexec_b32 s5, s0
	s_delay_alu instid0(SALU_CYCLE_1)
	s_xor_b32 s0, exec_lo, s5
; %bb.513:                              ;   in Loop: Header=BB13_508 Depth=1
	v_bfe_u32 v25, v24, 16, 1
	s_delay_alu instid0(VALU_DEP_1)
	v_add3_u32 v25, v24, v25, 0x7fff
                                        ; implicit-def: $vgpr24
; %bb.514:                              ;   in Loop: Header=BB13_508 Depth=1
	s_and_not1_saveexec_b32 s5, s0
	s_cbranch_execz .LBB13_507
; %bb.515:                              ;   in Loop: Header=BB13_508 Depth=1
	v_and_b32_e32 v25, 0xffff, v24
	v_or_b32_e32 v26, 0x10000, v24
	s_delay_alu instid0(VALU_DEP_2) | instskip(NEXT) | instid1(VALU_DEP_1)
	v_cmp_eq_u32_e64 s0, 0, v25
	v_cndmask_b32_e64 v25, v26, v24, s0
	s_branch .LBB13_507
.LBB13_516:
	s_or_b32 exec_lo, exec_lo, s4
	s_waitcnt lgkmcnt(0)
	ds_bpermute_b32 v18, v22, v10
	s_and_saveexec_b32 s4, vcc_lo
	s_cbranch_execz .LBB13_536
; %bb.517:
	v_or3_b32 v9, v46, v39, 2
	v_cmp_gt_i32_e64 s1, s21, v21
	s_delay_alu instid0(VALU_DEP_2) | instskip(NEXT) | instid1(VALU_DEP_1)
	v_cmp_gt_i32_e64 s0, s20, v9
	s_and_b32 s0, s0, s1
	s_delay_alu instid0(SALU_CYCLE_1)
	s_and_b32 exec_lo, exec_lo, s0
	s_cbranch_execz .LBB13_536
; %bb.518:
	v_and_b32_e32 v17, 0x7f800000, v10
	s_delay_alu instid0(VALU_DEP_1) | instskip(NEXT) | instid1(VALU_DEP_1)
	v_cmp_ne_u32_e64 s0, 0x7f800000, v17
                                        ; implicit-def: $vgpr17
	s_and_saveexec_b32 s1, s0
	s_delay_alu instid0(SALU_CYCLE_1)
	s_xor_b32 s0, exec_lo, s1
; %bb.519:
	v_bfe_u32 v17, v10, 16, 1
	s_delay_alu instid0(VALU_DEP_1)
	v_add3_u32 v17, v10, v17, 0x7fff
; %bb.520:
	s_and_not1_saveexec_b32 s1, s0
; %bb.521:
	v_and_b32_e32 v17, 0xffff, v10
	v_or_b32_e32 v19, 0x10000, v10
	s_delay_alu instid0(VALU_DEP_2) | instskip(NEXT) | instid1(VALU_DEP_1)
	v_cmp_eq_u32_e64 s0, 0, v17
	v_cndmask_b32_e64 v17, v19, v10, s0
; %bb.522:
	s_or_b32 exec_lo, exec_lo, s1
	s_waitcnt lgkmcnt(0)
	v_and_b32_e32 v10, 0x7f800000, v18
                                        ; implicit-def: $vgpr20
	s_delay_alu instid0(VALU_DEP_1) | instskip(NEXT) | instid1(VALU_DEP_1)
	v_cmp_ne_u32_e64 s0, 0x7f800000, v10
	s_and_saveexec_b32 s1, s0
	s_delay_alu instid0(SALU_CYCLE_1)
	s_xor_b32 s0, exec_lo, s1
; %bb.523:
	v_bfe_u32 v10, v18, 16, 1
	s_delay_alu instid0(VALU_DEP_1)
	v_add3_u32 v20, v18, v10, 0x7fff
                                        ; implicit-def: $vgpr18
; %bb.524:
	s_and_not1_saveexec_b32 s1, s0
; %bb.525:
	v_and_b32_e32 v10, 0xffff, v18
	v_or_b32_e32 v19, 0x10000, v18
	s_delay_alu instid0(VALU_DEP_2) | instskip(NEXT) | instid1(VALU_DEP_1)
	v_cmp_eq_u32_e64 s0, 0, v10
	v_cndmask_b32_e64 v20, v19, v18, s0
; %bb.526:
	s_or_b32 exec_lo, exec_lo, s1
	v_mul_lo_u32 v9, v9, s21
	s_ashr_i32 s0, s3, 31
	v_add_co_u32 v18, s1, s3, v45
	s_delay_alu instid0(VALU_DEP_1) | instskip(SKIP_2) | instid1(VALU_DEP_4)
	v_add_co_ci_u32_e64 v19, null, s0, 0, s1
	v_and_b32_e32 v20, 0xffff0000, v20
	s_mov_b32 s1, 0
	v_ashrrev_i32_e32 v10, 31, v9
	s_delay_alu instid0(VALU_DEP_3) | instskip(NEXT) | instid1(VALU_DEP_2)
	v_lshlrev_b64 v[18:19], 1, v[18:19]
	v_lshlrev_b64 v[9:10], 1, v[9:10]
	s_delay_alu instid0(VALU_DEP_1) | instskip(NEXT) | instid1(VALU_DEP_1)
	v_add_co_u32 v9, s0, s28, v9
	v_add_co_ci_u32_e64 v10, s0, s29, v10, s0
	s_delay_alu instid0(VALU_DEP_2) | instskip(NEXT) | instid1(VALU_DEP_1)
	v_add_co_u32 v9, s0, v9, v18
	v_add_co_ci_u32_e64 v10, s0, v10, v19, s0
	v_and_b32_e32 v19, 0xffff0000, v17
	global_load_b32 v18, v[9:10], off offset:64
	s_branch .LBB13_528
.LBB13_527:                             ;   in Loop: Header=BB13_528 Depth=1
	s_or_b32 exec_lo, exec_lo, s5
	v_lshrrev_b32_e32 v17, 16, v17
	s_delay_alu instid0(VALU_DEP_1) | instskip(SKIP_4) | instid1(VALU_DEP_2)
	v_and_or_b32 v17, 0xffff0000, v24, v17
	global_atomic_cmpswap_b32 v17, v[9:10], v[17:18], off offset:64 glc
	s_waitcnt vmcnt(0)
	v_cmp_eq_u32_e64 s0, v17, v18
	v_mov_b32_e32 v18, v17
	s_or_b32 s1, s0, s1
	s_delay_alu instid0(SALU_CYCLE_1)
	s_and_not1_b32 exec_lo, exec_lo, s1
	s_cbranch_execz .LBB13_536
.LBB13_528:                             ; =>This Inner Loop Header: Depth=1
	s_waitcnt vmcnt(0)
	v_lshlrev_b32_e32 v17, 16, v18
	s_delay_alu instid0(VALU_DEP_1) | instskip(NEXT) | instid1(VALU_DEP_1)
	v_add_f32_e32 v23, v19, v17
	v_and_b32_e32 v17, 0x7f800000, v23
	s_delay_alu instid0(VALU_DEP_1) | instskip(NEXT) | instid1(VALU_DEP_1)
	v_cmp_ne_u32_e64 s0, 0x7f800000, v17
                                        ; implicit-def: $vgpr17
	s_and_saveexec_b32 s5, s0
	s_delay_alu instid0(SALU_CYCLE_1)
	s_xor_b32 s0, exec_lo, s5
; %bb.529:                              ;   in Loop: Header=BB13_528 Depth=1
	v_bfe_u32 v17, v23, 16, 1
	s_delay_alu instid0(VALU_DEP_1)
	v_add3_u32 v17, v23, v17, 0x7fff
                                        ; implicit-def: $vgpr23
; %bb.530:                              ;   in Loop: Header=BB13_528 Depth=1
	s_and_not1_saveexec_b32 s5, s0
; %bb.531:                              ;   in Loop: Header=BB13_528 Depth=1
	v_and_b32_e32 v17, 0xffff, v23
	v_or_b32_e32 v24, 0x10000, v23
	s_delay_alu instid0(VALU_DEP_2) | instskip(NEXT) | instid1(VALU_DEP_1)
	v_cmp_eq_u32_e64 s0, 0, v17
	v_cndmask_b32_e64 v17, v24, v23, s0
; %bb.532:                              ;   in Loop: Header=BB13_528 Depth=1
	s_or_b32 exec_lo, exec_lo, s5
	v_and_b32_e32 v23, 0xffff0000, v18
	s_delay_alu instid0(VALU_DEP_1) | instskip(NEXT) | instid1(VALU_DEP_1)
	v_add_f32_e32 v23, v20, v23
	v_and_b32_e32 v24, 0x7f800000, v23
	s_delay_alu instid0(VALU_DEP_1) | instskip(NEXT) | instid1(VALU_DEP_1)
	v_cmp_ne_u32_e64 s0, 0x7f800000, v24
                                        ; implicit-def: $vgpr24
	s_and_saveexec_b32 s5, s0
	s_delay_alu instid0(SALU_CYCLE_1)
	s_xor_b32 s0, exec_lo, s5
; %bb.533:                              ;   in Loop: Header=BB13_528 Depth=1
	v_bfe_u32 v24, v23, 16, 1
	s_delay_alu instid0(VALU_DEP_1)
	v_add3_u32 v24, v23, v24, 0x7fff
                                        ; implicit-def: $vgpr23
; %bb.534:                              ;   in Loop: Header=BB13_528 Depth=1
	s_and_not1_saveexec_b32 s5, s0
	s_cbranch_execz .LBB13_527
; %bb.535:                              ;   in Loop: Header=BB13_528 Depth=1
	v_and_b32_e32 v24, 0xffff, v23
	v_or_b32_e32 v25, 0x10000, v23
	s_delay_alu instid0(VALU_DEP_2) | instskip(NEXT) | instid1(VALU_DEP_1)
	v_cmp_eq_u32_e64 s0, 0, v24
	v_cndmask_b32_e64 v24, v25, v23, s0
	s_branch .LBB13_527
.LBB13_536:
	s_or_b32 exec_lo, exec_lo, s4
	ds_bpermute_b32 v10, v22, v11
	s_and_saveexec_b32 s4, vcc_lo
	s_cbranch_execz .LBB13_556
; %bb.537:
	v_or3_b32 v9, v46, v39, 4
	v_cmp_gt_i32_e64 s1, s21, v21
	s_delay_alu instid0(VALU_DEP_2) | instskip(NEXT) | instid1(VALU_DEP_1)
	v_cmp_gt_i32_e64 s0, s20, v9
	s_and_b32 s0, s0, s1
	s_delay_alu instid0(SALU_CYCLE_1)
	s_and_b32 exec_lo, exec_lo, s0
	s_cbranch_execz .LBB13_556
; %bb.538:
	v_and_b32_e32 v17, 0x7f800000, v11
	s_delay_alu instid0(VALU_DEP_1) | instskip(NEXT) | instid1(VALU_DEP_1)
	v_cmp_ne_u32_e64 s0, 0x7f800000, v17
                                        ; implicit-def: $vgpr17
	s_and_saveexec_b32 s1, s0
	s_delay_alu instid0(SALU_CYCLE_1)
	s_xor_b32 s0, exec_lo, s1
; %bb.539:
	v_bfe_u32 v17, v11, 16, 1
	s_delay_alu instid0(VALU_DEP_1)
	v_add3_u32 v17, v11, v17, 0x7fff
; %bb.540:
	s_and_not1_saveexec_b32 s1, s0
	s_cbranch_execz .LBB13_542
; %bb.541:
	v_and_b32_e32 v17, 0xffff, v11
	s_waitcnt lgkmcnt(1)
	v_or_b32_e32 v18, 0x10000, v11
	s_delay_alu instid0(VALU_DEP_2) | instskip(NEXT) | instid1(VALU_DEP_1)
	v_cmp_eq_u32_e64 s0, 0, v17
	v_cndmask_b32_e64 v17, v18, v11, s0
.LBB13_542:
	s_or_b32 exec_lo, exec_lo, s1
	s_waitcnt lgkmcnt(0)
	v_and_b32_e32 v11, 0x7f800000, v10
                                        ; implicit-def: $vgpr19
	s_delay_alu instid0(VALU_DEP_1) | instskip(NEXT) | instid1(VALU_DEP_1)
	v_cmp_ne_u32_e64 s0, 0x7f800000, v11
	s_and_saveexec_b32 s1, s0
	s_delay_alu instid0(SALU_CYCLE_1)
	s_xor_b32 s0, exec_lo, s1
; %bb.543:
	v_bfe_u32 v11, v10, 16, 1
	s_delay_alu instid0(VALU_DEP_1)
	v_add3_u32 v19, v10, v11, 0x7fff
                                        ; implicit-def: $vgpr10
; %bb.544:
	s_and_not1_saveexec_b32 s1, s0
; %bb.545:
	v_and_b32_e32 v11, 0xffff, v10
	v_or_b32_e32 v18, 0x10000, v10
	s_delay_alu instid0(VALU_DEP_2) | instskip(NEXT) | instid1(VALU_DEP_1)
	v_cmp_eq_u32_e64 s0, 0, v11
	v_cndmask_b32_e64 v19, v18, v10, s0
; %bb.546:
	s_or_b32 exec_lo, exec_lo, s1
	v_mul_lo_u32 v9, v9, s21
	s_ashr_i32 s0, s3, 31
	v_add_co_u32 v23, s1, s3, v45
	s_delay_alu instid0(VALU_DEP_1) | instskip(SKIP_3) | instid1(VALU_DEP_4)
	v_add_co_ci_u32_e64 v24, null, s0, 0, s1
	v_and_b32_e32 v11, 0xffff0000, v17
	v_and_b32_e32 v19, 0xffff0000, v19
	v_ashrrev_i32_e32 v10, 31, v9
	v_lshlrev_b64 v[23:24], 1, v[23:24]
	s_mov_b32 s1, 0
	s_delay_alu instid0(VALU_DEP_2) | instskip(NEXT) | instid1(VALU_DEP_1)
	v_lshlrev_b64 v[9:10], 1, v[9:10]
	v_add_co_u32 v9, s0, s28, v9
	s_delay_alu instid0(VALU_DEP_1) | instskip(NEXT) | instid1(VALU_DEP_2)
	v_add_co_ci_u32_e64 v10, s0, s29, v10, s0
	v_add_co_u32 v9, s0, v9, v23
	s_delay_alu instid0(VALU_DEP_1)
	v_add_co_ci_u32_e64 v10, s0, v10, v24, s0
	global_load_b32 v18, v[9:10], off offset:64
	s_branch .LBB13_548
.LBB13_547:                             ;   in Loop: Header=BB13_548 Depth=1
	s_or_b32 exec_lo, exec_lo, s5
	v_lshrrev_b32_e32 v17, 16, v17
	s_delay_alu instid0(VALU_DEP_1) | instskip(SKIP_4) | instid1(VALU_DEP_2)
	v_and_or_b32 v17, 0xffff0000, v23, v17
	global_atomic_cmpswap_b32 v17, v[9:10], v[17:18], off offset:64 glc
	s_waitcnt vmcnt(0)
	v_cmp_eq_u32_e64 s0, v17, v18
	v_mov_b32_e32 v18, v17
	s_or_b32 s1, s0, s1
	s_delay_alu instid0(SALU_CYCLE_1)
	s_and_not1_b32 exec_lo, exec_lo, s1
	s_cbranch_execz .LBB13_556
.LBB13_548:                             ; =>This Inner Loop Header: Depth=1
	s_waitcnt vmcnt(0)
	v_lshlrev_b32_e32 v17, 16, v18
	s_delay_alu instid0(VALU_DEP_1) | instskip(NEXT) | instid1(VALU_DEP_1)
	v_add_f32_e32 v20, v11, v17
	v_and_b32_e32 v17, 0x7f800000, v20
	s_delay_alu instid0(VALU_DEP_1) | instskip(NEXT) | instid1(VALU_DEP_1)
	v_cmp_ne_u32_e64 s0, 0x7f800000, v17
                                        ; implicit-def: $vgpr17
	s_and_saveexec_b32 s5, s0
	s_delay_alu instid0(SALU_CYCLE_1)
	s_xor_b32 s0, exec_lo, s5
; %bb.549:                              ;   in Loop: Header=BB13_548 Depth=1
	v_bfe_u32 v17, v20, 16, 1
	s_delay_alu instid0(VALU_DEP_1)
	v_add3_u32 v17, v20, v17, 0x7fff
                                        ; implicit-def: $vgpr20
; %bb.550:                              ;   in Loop: Header=BB13_548 Depth=1
	s_and_not1_saveexec_b32 s5, s0
; %bb.551:                              ;   in Loop: Header=BB13_548 Depth=1
	v_and_b32_e32 v17, 0xffff, v20
	v_or_b32_e32 v23, 0x10000, v20
	s_delay_alu instid0(VALU_DEP_2) | instskip(NEXT) | instid1(VALU_DEP_1)
	v_cmp_eq_u32_e64 s0, 0, v17
	v_cndmask_b32_e64 v17, v23, v20, s0
; %bb.552:                              ;   in Loop: Header=BB13_548 Depth=1
	s_or_b32 exec_lo, exec_lo, s5
	v_and_b32_e32 v20, 0xffff0000, v18
	s_delay_alu instid0(VALU_DEP_1) | instskip(NEXT) | instid1(VALU_DEP_1)
	v_add_f32_e32 v20, v19, v20
	v_and_b32_e32 v23, 0x7f800000, v20
	s_delay_alu instid0(VALU_DEP_1) | instskip(NEXT) | instid1(VALU_DEP_1)
	v_cmp_ne_u32_e64 s0, 0x7f800000, v23
                                        ; implicit-def: $vgpr23
	s_and_saveexec_b32 s5, s0
	s_delay_alu instid0(SALU_CYCLE_1)
	s_xor_b32 s0, exec_lo, s5
; %bb.553:                              ;   in Loop: Header=BB13_548 Depth=1
	v_bfe_u32 v23, v20, 16, 1
	s_delay_alu instid0(VALU_DEP_1)
	v_add3_u32 v23, v20, v23, 0x7fff
                                        ; implicit-def: $vgpr20
; %bb.554:                              ;   in Loop: Header=BB13_548 Depth=1
	s_and_not1_saveexec_b32 s5, s0
	s_cbranch_execz .LBB13_547
; %bb.555:                              ;   in Loop: Header=BB13_548 Depth=1
	v_and_b32_e32 v23, 0xffff, v20
	v_or_b32_e32 v24, 0x10000, v20
	s_delay_alu instid0(VALU_DEP_2) | instskip(NEXT) | instid1(VALU_DEP_1)
	v_cmp_eq_u32_e64 s0, 0, v23
	v_cndmask_b32_e64 v23, v24, v20, s0
	s_branch .LBB13_547
.LBB13_556:
	s_or_b32 exec_lo, exec_lo, s4
	s_waitcnt lgkmcnt(0)
	ds_bpermute_b32 v10, v22, v12
	s_and_saveexec_b32 s4, vcc_lo
	s_cbranch_execz .LBB13_576
; %bb.557:
	v_or3_b32 v9, v46, v39, 6
	v_cmp_gt_i32_e64 s1, s21, v21
	s_delay_alu instid0(VALU_DEP_2) | instskip(NEXT) | instid1(VALU_DEP_1)
	v_cmp_gt_i32_e64 s0, s20, v9
	s_and_b32 s0, s0, s1
	s_delay_alu instid0(SALU_CYCLE_1)
	s_and_b32 exec_lo, exec_lo, s0
	s_cbranch_execz .LBB13_576
; %bb.558:
	v_and_b32_e32 v11, 0x7f800000, v12
	s_delay_alu instid0(VALU_DEP_1) | instskip(NEXT) | instid1(VALU_DEP_1)
	v_cmp_ne_u32_e64 s0, 0x7f800000, v11
                                        ; implicit-def: $vgpr11
	s_and_saveexec_b32 s1, s0
	s_delay_alu instid0(SALU_CYCLE_1)
	s_xor_b32 s0, exec_lo, s1
; %bb.559:
	v_bfe_u32 v11, v12, 16, 1
	s_delay_alu instid0(VALU_DEP_1)
	v_add3_u32 v11, v12, v11, 0x7fff
; %bb.560:
	s_and_not1_saveexec_b32 s1, s0
; %bb.561:
	v_and_b32_e32 v11, 0xffff, v12
	v_or_b32_e32 v17, 0x10000, v12
	s_delay_alu instid0(VALU_DEP_2) | instskip(NEXT) | instid1(VALU_DEP_1)
	v_cmp_eq_u32_e64 s0, 0, v11
	v_cndmask_b32_e64 v11, v17, v12, s0
; %bb.562:
	s_or_b32 exec_lo, exec_lo, s1
	s_waitcnt lgkmcnt(0)
	v_and_b32_e32 v12, 0x7f800000, v10
                                        ; implicit-def: $vgpr18
	s_delay_alu instid0(VALU_DEP_1) | instskip(NEXT) | instid1(VALU_DEP_1)
	v_cmp_ne_u32_e64 s0, 0x7f800000, v12
	s_and_saveexec_b32 s1, s0
	s_delay_alu instid0(SALU_CYCLE_1)
	s_xor_b32 s0, exec_lo, s1
; %bb.563:
	v_bfe_u32 v12, v10, 16, 1
	s_delay_alu instid0(VALU_DEP_1)
	v_add3_u32 v18, v10, v12, 0x7fff
                                        ; implicit-def: $vgpr10
; %bb.564:
	s_and_not1_saveexec_b32 s1, s0
; %bb.565:
	v_and_b32_e32 v12, 0xffff, v10
	v_or_b32_e32 v17, 0x10000, v10
	s_delay_alu instid0(VALU_DEP_2) | instskip(NEXT) | instid1(VALU_DEP_1)
	v_cmp_eq_u32_e64 s0, 0, v12
	v_cndmask_b32_e64 v18, v17, v10, s0
; %bb.566:
	s_or_b32 exec_lo, exec_lo, s1
	v_mul_lo_u32 v9, v9, s21
	s_ashr_i32 s0, s3, 31
	v_add_co_u32 v19, s1, s3, v45
	s_delay_alu instid0(VALU_DEP_1) | instskip(SKIP_3) | instid1(VALU_DEP_4)
	v_add_co_ci_u32_e64 v20, null, s0, 0, s1
	v_and_b32_e32 v17, 0xffff0000, v11
	v_and_b32_e32 v18, 0xffff0000, v18
	v_ashrrev_i32_e32 v10, 31, v9
	v_lshlrev_b64 v[19:20], 1, v[19:20]
	s_mov_b32 s1, 0
	s_delay_alu instid0(VALU_DEP_2) | instskip(NEXT) | instid1(VALU_DEP_1)
	v_lshlrev_b64 v[9:10], 1, v[9:10]
	v_add_co_u32 v9, s0, s28, v9
	s_delay_alu instid0(VALU_DEP_1) | instskip(NEXT) | instid1(VALU_DEP_2)
	v_add_co_ci_u32_e64 v10, s0, s29, v10, s0
	v_add_co_u32 v9, s0, v9, v19
	s_delay_alu instid0(VALU_DEP_1)
	v_add_co_ci_u32_e64 v10, s0, v10, v20, s0
	global_load_b32 v12, v[9:10], off offset:64
	s_branch .LBB13_568
.LBB13_567:                             ;   in Loop: Header=BB13_568 Depth=1
	s_or_b32 exec_lo, exec_lo, s5
	v_lshrrev_b32_e32 v11, 16, v11
	s_delay_alu instid0(VALU_DEP_1) | instskip(SKIP_4) | instid1(VALU_DEP_2)
	v_and_or_b32 v11, 0xffff0000, v20, v11
	global_atomic_cmpswap_b32 v11, v[9:10], v[11:12], off offset:64 glc
	s_waitcnt vmcnt(0)
	v_cmp_eq_u32_e64 s0, v11, v12
	v_mov_b32_e32 v12, v11
	s_or_b32 s1, s0, s1
	s_delay_alu instid0(SALU_CYCLE_1)
	s_and_not1_b32 exec_lo, exec_lo, s1
	s_cbranch_execz .LBB13_576
.LBB13_568:                             ; =>This Inner Loop Header: Depth=1
	s_waitcnt vmcnt(0)
	v_lshlrev_b32_e32 v11, 16, v12
	s_delay_alu instid0(VALU_DEP_1) | instskip(NEXT) | instid1(VALU_DEP_1)
	v_add_f32_e32 v19, v17, v11
	v_and_b32_e32 v11, 0x7f800000, v19
	s_delay_alu instid0(VALU_DEP_1) | instskip(NEXT) | instid1(VALU_DEP_1)
	v_cmp_ne_u32_e64 s0, 0x7f800000, v11
                                        ; implicit-def: $vgpr11
	s_and_saveexec_b32 s5, s0
	s_delay_alu instid0(SALU_CYCLE_1)
	s_xor_b32 s0, exec_lo, s5
; %bb.569:                              ;   in Loop: Header=BB13_568 Depth=1
	v_bfe_u32 v11, v19, 16, 1
	s_delay_alu instid0(VALU_DEP_1)
	v_add3_u32 v11, v19, v11, 0x7fff
                                        ; implicit-def: $vgpr19
; %bb.570:                              ;   in Loop: Header=BB13_568 Depth=1
	s_and_not1_saveexec_b32 s5, s0
; %bb.571:                              ;   in Loop: Header=BB13_568 Depth=1
	v_and_b32_e32 v11, 0xffff, v19
	v_or_b32_e32 v20, 0x10000, v19
	s_delay_alu instid0(VALU_DEP_2) | instskip(NEXT) | instid1(VALU_DEP_1)
	v_cmp_eq_u32_e64 s0, 0, v11
	v_cndmask_b32_e64 v11, v20, v19, s0
; %bb.572:                              ;   in Loop: Header=BB13_568 Depth=1
	s_or_b32 exec_lo, exec_lo, s5
	v_and_b32_e32 v19, 0xffff0000, v12
	s_delay_alu instid0(VALU_DEP_1) | instskip(NEXT) | instid1(VALU_DEP_1)
	v_add_f32_e32 v19, v18, v19
	v_and_b32_e32 v20, 0x7f800000, v19
	s_delay_alu instid0(VALU_DEP_1) | instskip(NEXT) | instid1(VALU_DEP_1)
	v_cmp_ne_u32_e64 s0, 0x7f800000, v20
                                        ; implicit-def: $vgpr20
	s_and_saveexec_b32 s5, s0
	s_delay_alu instid0(SALU_CYCLE_1)
	s_xor_b32 s0, exec_lo, s5
; %bb.573:                              ;   in Loop: Header=BB13_568 Depth=1
	v_bfe_u32 v20, v19, 16, 1
	s_delay_alu instid0(VALU_DEP_1)
	v_add3_u32 v20, v19, v20, 0x7fff
                                        ; implicit-def: $vgpr19
; %bb.574:                              ;   in Loop: Header=BB13_568 Depth=1
	s_and_not1_saveexec_b32 s5, s0
	s_cbranch_execz .LBB13_567
; %bb.575:                              ;   in Loop: Header=BB13_568 Depth=1
	v_and_b32_e32 v20, 0xffff, v19
	v_or_b32_e32 v23, 0x10000, v19
	s_delay_alu instid0(VALU_DEP_2) | instskip(NEXT) | instid1(VALU_DEP_1)
	v_cmp_eq_u32_e64 s0, 0, v20
	v_cndmask_b32_e64 v20, v23, v19, s0
	s_branch .LBB13_567
.LBB13_576:
	s_or_b32 exec_lo, exec_lo, s4
	s_waitcnt lgkmcnt(0)
	ds_bpermute_b32 v10, v22, v13
	s_and_saveexec_b32 s4, vcc_lo
	s_cbranch_execz .LBB13_596
; %bb.577:
	v_or3_b32 v9, v46, v39, 8
	v_cmp_gt_i32_e64 s1, s21, v21
	s_delay_alu instid0(VALU_DEP_2) | instskip(NEXT) | instid1(VALU_DEP_1)
	v_cmp_gt_i32_e64 s0, s20, v9
	s_and_b32 s0, s0, s1
	s_delay_alu instid0(SALU_CYCLE_1)
	s_and_b32 exec_lo, exec_lo, s0
	s_cbranch_execz .LBB13_596
; %bb.578:
	v_and_b32_e32 v11, 0x7f800000, v13
	s_delay_alu instid0(VALU_DEP_1) | instskip(NEXT) | instid1(VALU_DEP_1)
	v_cmp_ne_u32_e64 s0, 0x7f800000, v11
                                        ; implicit-def: $vgpr11
	s_and_saveexec_b32 s1, s0
	s_delay_alu instid0(SALU_CYCLE_1)
	s_xor_b32 s0, exec_lo, s1
; %bb.579:
	v_bfe_u32 v11, v13, 16, 1
	s_delay_alu instid0(VALU_DEP_1)
	v_add3_u32 v11, v13, v11, 0x7fff
; %bb.580:
	s_and_not1_saveexec_b32 s1, s0
; %bb.581:
	v_and_b32_e32 v11, 0xffff, v13
	v_or_b32_e32 v12, 0x10000, v13
	s_delay_alu instid0(VALU_DEP_2) | instskip(NEXT) | instid1(VALU_DEP_1)
	v_cmp_eq_u32_e64 s0, 0, v11
	v_cndmask_b32_e64 v11, v12, v13, s0
; %bb.582:
	s_or_b32 exec_lo, exec_lo, s1
	s_waitcnt lgkmcnt(0)
	v_and_b32_e32 v12, 0x7f800000, v10
                                        ; implicit-def: $vgpr17
	s_delay_alu instid0(VALU_DEP_1) | instskip(NEXT) | instid1(VALU_DEP_1)
	v_cmp_ne_u32_e64 s0, 0x7f800000, v12
	s_and_saveexec_b32 s1, s0
	s_delay_alu instid0(SALU_CYCLE_1)
	s_xor_b32 s0, exec_lo, s1
; %bb.583:
	v_bfe_u32 v12, v10, 16, 1
	s_delay_alu instid0(VALU_DEP_1)
	v_add3_u32 v17, v10, v12, 0x7fff
                                        ; implicit-def: $vgpr10
; %bb.584:
	s_and_not1_saveexec_b32 s1, s0
; %bb.585:
	v_and_b32_e32 v12, 0xffff, v10
	v_or_b32_e32 v13, 0x10000, v10
	s_delay_alu instid0(VALU_DEP_2) | instskip(NEXT) | instid1(VALU_DEP_1)
	v_cmp_eq_u32_e64 s0, 0, v12
	v_cndmask_b32_e64 v17, v13, v10, s0
; %bb.586:
	s_or_b32 exec_lo, exec_lo, s1
	v_mul_lo_u32 v9, v9, s21
	s_ashr_i32 s0, s3, 31
	v_add_co_u32 v12, s1, s3, v45
	s_delay_alu instid0(VALU_DEP_1) | instskip(SKIP_2) | instid1(VALU_DEP_4)
	v_add_co_ci_u32_e64 v13, null, s0, 0, s1
	v_and_b32_e32 v17, 0xffff0000, v17
	s_mov_b32 s1, 0
	v_ashrrev_i32_e32 v10, 31, v9
	s_delay_alu instid0(VALU_DEP_3) | instskip(NEXT) | instid1(VALU_DEP_2)
	v_lshlrev_b64 v[12:13], 1, v[12:13]
	v_lshlrev_b64 v[9:10], 1, v[9:10]
	s_delay_alu instid0(VALU_DEP_1) | instskip(NEXT) | instid1(VALU_DEP_1)
	v_add_co_u32 v9, s0, s28, v9
	v_add_co_ci_u32_e64 v10, s0, s29, v10, s0
	s_delay_alu instid0(VALU_DEP_2) | instskip(NEXT) | instid1(VALU_DEP_1)
	v_add_co_u32 v9, s0, v9, v12
	v_add_co_ci_u32_e64 v10, s0, v10, v13, s0
	v_and_b32_e32 v13, 0xffff0000, v11
	global_load_b32 v12, v[9:10], off offset:64
	s_branch .LBB13_588
.LBB13_587:                             ;   in Loop: Header=BB13_588 Depth=1
	s_or_b32 exec_lo, exec_lo, s5
	v_lshrrev_b32_e32 v11, 16, v11
	s_delay_alu instid0(VALU_DEP_1) | instskip(SKIP_4) | instid1(VALU_DEP_2)
	v_and_or_b32 v11, 0xffff0000, v19, v11
	global_atomic_cmpswap_b32 v11, v[9:10], v[11:12], off offset:64 glc
	s_waitcnt vmcnt(0)
	v_cmp_eq_u32_e64 s0, v11, v12
	v_mov_b32_e32 v12, v11
	s_or_b32 s1, s0, s1
	s_delay_alu instid0(SALU_CYCLE_1)
	s_and_not1_b32 exec_lo, exec_lo, s1
	s_cbranch_execz .LBB13_596
.LBB13_588:                             ; =>This Inner Loop Header: Depth=1
	s_waitcnt vmcnt(0)
	v_lshlrev_b32_e32 v11, 16, v12
	s_delay_alu instid0(VALU_DEP_1) | instskip(NEXT) | instid1(VALU_DEP_1)
	v_add_f32_e32 v18, v13, v11
	v_and_b32_e32 v11, 0x7f800000, v18
	s_delay_alu instid0(VALU_DEP_1) | instskip(NEXT) | instid1(VALU_DEP_1)
	v_cmp_ne_u32_e64 s0, 0x7f800000, v11
                                        ; implicit-def: $vgpr11
	s_and_saveexec_b32 s5, s0
	s_delay_alu instid0(SALU_CYCLE_1)
	s_xor_b32 s0, exec_lo, s5
; %bb.589:                              ;   in Loop: Header=BB13_588 Depth=1
	v_bfe_u32 v11, v18, 16, 1
	s_delay_alu instid0(VALU_DEP_1)
	v_add3_u32 v11, v18, v11, 0x7fff
                                        ; implicit-def: $vgpr18
; %bb.590:                              ;   in Loop: Header=BB13_588 Depth=1
	s_and_not1_saveexec_b32 s5, s0
; %bb.591:                              ;   in Loop: Header=BB13_588 Depth=1
	v_and_b32_e32 v11, 0xffff, v18
	v_or_b32_e32 v19, 0x10000, v18
	s_delay_alu instid0(VALU_DEP_2) | instskip(NEXT) | instid1(VALU_DEP_1)
	v_cmp_eq_u32_e64 s0, 0, v11
	v_cndmask_b32_e64 v11, v19, v18, s0
; %bb.592:                              ;   in Loop: Header=BB13_588 Depth=1
	s_or_b32 exec_lo, exec_lo, s5
	v_and_b32_e32 v18, 0xffff0000, v12
	s_delay_alu instid0(VALU_DEP_1) | instskip(NEXT) | instid1(VALU_DEP_1)
	v_add_f32_e32 v18, v17, v18
	v_and_b32_e32 v19, 0x7f800000, v18
	s_delay_alu instid0(VALU_DEP_1) | instskip(NEXT) | instid1(VALU_DEP_1)
	v_cmp_ne_u32_e64 s0, 0x7f800000, v19
                                        ; implicit-def: $vgpr19
	s_and_saveexec_b32 s5, s0
	s_delay_alu instid0(SALU_CYCLE_1)
	s_xor_b32 s0, exec_lo, s5
; %bb.593:                              ;   in Loop: Header=BB13_588 Depth=1
	v_bfe_u32 v19, v18, 16, 1
	s_delay_alu instid0(VALU_DEP_1)
	v_add3_u32 v19, v18, v19, 0x7fff
                                        ; implicit-def: $vgpr18
; %bb.594:                              ;   in Loop: Header=BB13_588 Depth=1
	s_and_not1_saveexec_b32 s5, s0
	s_cbranch_execz .LBB13_587
; %bb.595:                              ;   in Loop: Header=BB13_588 Depth=1
	v_and_b32_e32 v19, 0xffff, v18
	v_or_b32_e32 v20, 0x10000, v18
	s_delay_alu instid0(VALU_DEP_2) | instskip(NEXT) | instid1(VALU_DEP_1)
	v_cmp_eq_u32_e64 s0, 0, v19
	v_cndmask_b32_e64 v19, v20, v18, s0
	s_branch .LBB13_587
.LBB13_596:
	s_or_b32 exec_lo, exec_lo, s4
	s_waitcnt lgkmcnt(0)
	ds_bpermute_b32 v10, v22, v14
	s_and_saveexec_b32 s4, vcc_lo
	s_cbranch_execz .LBB13_616
; %bb.597:
	v_or3_b32 v9, v46, v39, 10
	v_cmp_gt_i32_e64 s1, s21, v21
	s_delay_alu instid0(VALU_DEP_2) | instskip(NEXT) | instid1(VALU_DEP_1)
	v_cmp_gt_i32_e64 s0, s20, v9
	s_and_b32 s0, s0, s1
	s_delay_alu instid0(SALU_CYCLE_1)
	s_and_b32 exec_lo, exec_lo, s0
	s_cbranch_execz .LBB13_616
; %bb.598:
	v_and_b32_e32 v11, 0x7f800000, v14
	s_delay_alu instid0(VALU_DEP_1) | instskip(NEXT) | instid1(VALU_DEP_1)
	v_cmp_ne_u32_e64 s0, 0x7f800000, v11
                                        ; implicit-def: $vgpr11
	s_and_saveexec_b32 s1, s0
	s_delay_alu instid0(SALU_CYCLE_1)
	s_xor_b32 s0, exec_lo, s1
; %bb.599:
	v_bfe_u32 v11, v14, 16, 1
	s_delay_alu instid0(VALU_DEP_1)
	v_add3_u32 v11, v14, v11, 0x7fff
; %bb.600:
	s_and_not1_saveexec_b32 s1, s0
; %bb.601:
	v_and_b32_e32 v11, 0xffff, v14
	v_or_b32_e32 v12, 0x10000, v14
	s_delay_alu instid0(VALU_DEP_2) | instskip(NEXT) | instid1(VALU_DEP_1)
	v_cmp_eq_u32_e64 s0, 0, v11
	v_cndmask_b32_e64 v11, v12, v14, s0
; %bb.602:
	s_or_b32 exec_lo, exec_lo, s1
	s_waitcnt lgkmcnt(0)
	v_and_b32_e32 v12, 0x7f800000, v10
                                        ; implicit-def: $vgpr14
	s_delay_alu instid0(VALU_DEP_1) | instskip(NEXT) | instid1(VALU_DEP_1)
	v_cmp_ne_u32_e64 s0, 0x7f800000, v12
	s_and_saveexec_b32 s1, s0
	s_delay_alu instid0(SALU_CYCLE_1)
	s_xor_b32 s0, exec_lo, s1
; %bb.603:
	v_bfe_u32 v12, v10, 16, 1
	s_delay_alu instid0(VALU_DEP_1)
	v_add3_u32 v14, v10, v12, 0x7fff
                                        ; implicit-def: $vgpr10
; %bb.604:
	s_and_not1_saveexec_b32 s1, s0
; %bb.605:
	v_and_b32_e32 v12, 0xffff, v10
	v_or_b32_e32 v13, 0x10000, v10
	s_delay_alu instid0(VALU_DEP_2) | instskip(NEXT) | instid1(VALU_DEP_1)
	v_cmp_eq_u32_e64 s0, 0, v12
	v_cndmask_b32_e64 v14, v13, v10, s0
; %bb.606:
	s_or_b32 exec_lo, exec_lo, s1
	v_mul_lo_u32 v9, v9, s21
	s_ashr_i32 s0, s3, 31
	v_add_co_u32 v12, s1, s3, v45
	s_delay_alu instid0(VALU_DEP_1) | instskip(SKIP_2) | instid1(VALU_DEP_4)
	v_add_co_ci_u32_e64 v13, null, s0, 0, s1
	v_and_b32_e32 v14, 0xffff0000, v14
	s_mov_b32 s1, 0
	v_ashrrev_i32_e32 v10, 31, v9
	s_delay_alu instid0(VALU_DEP_3) | instskip(NEXT) | instid1(VALU_DEP_2)
	v_lshlrev_b64 v[12:13], 1, v[12:13]
	v_lshlrev_b64 v[9:10], 1, v[9:10]
	s_delay_alu instid0(VALU_DEP_1) | instskip(NEXT) | instid1(VALU_DEP_1)
	v_add_co_u32 v9, s0, s28, v9
	v_add_co_ci_u32_e64 v10, s0, s29, v10, s0
	s_delay_alu instid0(VALU_DEP_2) | instskip(NEXT) | instid1(VALU_DEP_1)
	v_add_co_u32 v9, s0, v9, v12
	v_add_co_ci_u32_e64 v10, s0, v10, v13, s0
	v_and_b32_e32 v13, 0xffff0000, v11
	global_load_b32 v12, v[9:10], off offset:64
	s_branch .LBB13_608
.LBB13_607:                             ;   in Loop: Header=BB13_608 Depth=1
	s_or_b32 exec_lo, exec_lo, s5
	v_lshrrev_b32_e32 v11, 16, v11
	s_delay_alu instid0(VALU_DEP_1) | instskip(SKIP_4) | instid1(VALU_DEP_2)
	v_and_or_b32 v11, 0xffff0000, v18, v11
	global_atomic_cmpswap_b32 v11, v[9:10], v[11:12], off offset:64 glc
	s_waitcnt vmcnt(0)
	v_cmp_eq_u32_e64 s0, v11, v12
	v_mov_b32_e32 v12, v11
	s_or_b32 s1, s0, s1
	s_delay_alu instid0(SALU_CYCLE_1)
	s_and_not1_b32 exec_lo, exec_lo, s1
	s_cbranch_execz .LBB13_616
.LBB13_608:                             ; =>This Inner Loop Header: Depth=1
	s_waitcnt vmcnt(0)
	v_lshlrev_b32_e32 v11, 16, v12
	s_delay_alu instid0(VALU_DEP_1) | instskip(NEXT) | instid1(VALU_DEP_1)
	v_add_f32_e32 v17, v13, v11
	v_and_b32_e32 v11, 0x7f800000, v17
	s_delay_alu instid0(VALU_DEP_1) | instskip(NEXT) | instid1(VALU_DEP_1)
	v_cmp_ne_u32_e64 s0, 0x7f800000, v11
                                        ; implicit-def: $vgpr11
	s_and_saveexec_b32 s5, s0
	s_delay_alu instid0(SALU_CYCLE_1)
	s_xor_b32 s0, exec_lo, s5
; %bb.609:                              ;   in Loop: Header=BB13_608 Depth=1
	v_bfe_u32 v11, v17, 16, 1
	s_delay_alu instid0(VALU_DEP_1)
	v_add3_u32 v11, v17, v11, 0x7fff
                                        ; implicit-def: $vgpr17
; %bb.610:                              ;   in Loop: Header=BB13_608 Depth=1
	s_and_not1_saveexec_b32 s5, s0
; %bb.611:                              ;   in Loop: Header=BB13_608 Depth=1
	v_and_b32_e32 v11, 0xffff, v17
	v_or_b32_e32 v18, 0x10000, v17
	s_delay_alu instid0(VALU_DEP_2) | instskip(NEXT) | instid1(VALU_DEP_1)
	v_cmp_eq_u32_e64 s0, 0, v11
	v_cndmask_b32_e64 v11, v18, v17, s0
; %bb.612:                              ;   in Loop: Header=BB13_608 Depth=1
	s_or_b32 exec_lo, exec_lo, s5
	v_and_b32_e32 v17, 0xffff0000, v12
	s_delay_alu instid0(VALU_DEP_1) | instskip(NEXT) | instid1(VALU_DEP_1)
	v_add_f32_e32 v17, v14, v17
	v_and_b32_e32 v18, 0x7f800000, v17
	s_delay_alu instid0(VALU_DEP_1) | instskip(NEXT) | instid1(VALU_DEP_1)
	v_cmp_ne_u32_e64 s0, 0x7f800000, v18
                                        ; implicit-def: $vgpr18
	s_and_saveexec_b32 s5, s0
	s_delay_alu instid0(SALU_CYCLE_1)
	s_xor_b32 s0, exec_lo, s5
; %bb.613:                              ;   in Loop: Header=BB13_608 Depth=1
	v_bfe_u32 v18, v17, 16, 1
	s_delay_alu instid0(VALU_DEP_1)
	v_add3_u32 v18, v17, v18, 0x7fff
                                        ; implicit-def: $vgpr17
; %bb.614:                              ;   in Loop: Header=BB13_608 Depth=1
	s_and_not1_saveexec_b32 s5, s0
	s_cbranch_execz .LBB13_607
; %bb.615:                              ;   in Loop: Header=BB13_608 Depth=1
	v_and_b32_e32 v18, 0xffff, v17
	v_or_b32_e32 v19, 0x10000, v17
	s_delay_alu instid0(VALU_DEP_2) | instskip(NEXT) | instid1(VALU_DEP_1)
	v_cmp_eq_u32_e64 s0, 0, v18
	v_cndmask_b32_e64 v18, v19, v17, s0
	s_branch .LBB13_607
.LBB13_616:
	s_or_b32 exec_lo, exec_lo, s4
	s_waitcnt lgkmcnt(0)
	ds_bpermute_b32 v10, v22, v15
	s_and_saveexec_b32 s4, vcc_lo
	s_cbranch_execz .LBB13_636
; %bb.617:
	v_or3_b32 v9, v46, v39, 12
	v_cmp_gt_i32_e64 s1, s21, v21
	s_delay_alu instid0(VALU_DEP_2) | instskip(NEXT) | instid1(VALU_DEP_1)
	v_cmp_gt_i32_e64 s0, s20, v9
	s_and_b32 s0, s0, s1
	s_delay_alu instid0(SALU_CYCLE_1)
	s_and_b32 exec_lo, exec_lo, s0
	s_cbranch_execz .LBB13_636
; %bb.618:
	v_and_b32_e32 v11, 0x7f800000, v15
	s_delay_alu instid0(VALU_DEP_1) | instskip(NEXT) | instid1(VALU_DEP_1)
	v_cmp_ne_u32_e64 s0, 0x7f800000, v11
                                        ; implicit-def: $vgpr11
	s_and_saveexec_b32 s1, s0
	s_delay_alu instid0(SALU_CYCLE_1)
	s_xor_b32 s0, exec_lo, s1
; %bb.619:
	v_bfe_u32 v11, v15, 16, 1
	s_delay_alu instid0(VALU_DEP_1)
	v_add3_u32 v11, v15, v11, 0x7fff
; %bb.620:
	s_and_not1_saveexec_b32 s1, s0
; %bb.621:
	v_and_b32_e32 v11, 0xffff, v15
	v_or_b32_e32 v12, 0x10000, v15
	s_delay_alu instid0(VALU_DEP_2) | instskip(NEXT) | instid1(VALU_DEP_1)
	v_cmp_eq_u32_e64 s0, 0, v11
	v_cndmask_b32_e64 v11, v12, v15, s0
; %bb.622:
	s_or_b32 exec_lo, exec_lo, s1
	s_waitcnt lgkmcnt(0)
	v_and_b32_e32 v12, 0x7f800000, v10
                                        ; implicit-def: $vgpr14
	s_delay_alu instid0(VALU_DEP_1) | instskip(NEXT) | instid1(VALU_DEP_1)
	v_cmp_ne_u32_e64 s0, 0x7f800000, v12
	s_and_saveexec_b32 s1, s0
	s_delay_alu instid0(SALU_CYCLE_1)
	s_xor_b32 s0, exec_lo, s1
; %bb.623:
	v_bfe_u32 v12, v10, 16, 1
	s_delay_alu instid0(VALU_DEP_1)
	v_add3_u32 v14, v10, v12, 0x7fff
                                        ; implicit-def: $vgpr10
; %bb.624:
	s_and_not1_saveexec_b32 s1, s0
; %bb.625:
	v_and_b32_e32 v12, 0xffff, v10
	v_or_b32_e32 v13, 0x10000, v10
	s_delay_alu instid0(VALU_DEP_2) | instskip(NEXT) | instid1(VALU_DEP_1)
	v_cmp_eq_u32_e64 s0, 0, v12
	v_cndmask_b32_e64 v14, v13, v10, s0
; %bb.626:
	s_or_b32 exec_lo, exec_lo, s1
	v_mul_lo_u32 v9, v9, s21
	s_ashr_i32 s0, s3, 31
	v_add_co_u32 v12, s1, s3, v45
	s_delay_alu instid0(VALU_DEP_1) | instskip(SKIP_2) | instid1(VALU_DEP_4)
	v_add_co_ci_u32_e64 v13, null, s0, 0, s1
	v_and_b32_e32 v14, 0xffff0000, v14
	s_mov_b32 s1, 0
	v_ashrrev_i32_e32 v10, 31, v9
	s_delay_alu instid0(VALU_DEP_3) | instskip(NEXT) | instid1(VALU_DEP_2)
	v_lshlrev_b64 v[12:13], 1, v[12:13]
	v_lshlrev_b64 v[9:10], 1, v[9:10]
	s_delay_alu instid0(VALU_DEP_1) | instskip(NEXT) | instid1(VALU_DEP_1)
	v_add_co_u32 v9, s0, s28, v9
	v_add_co_ci_u32_e64 v10, s0, s29, v10, s0
	s_delay_alu instid0(VALU_DEP_2) | instskip(NEXT) | instid1(VALU_DEP_1)
	v_add_co_u32 v9, s0, v9, v12
	v_add_co_ci_u32_e64 v10, s0, v10, v13, s0
	v_and_b32_e32 v13, 0xffff0000, v11
	global_load_b32 v12, v[9:10], off offset:64
	s_branch .LBB13_628
.LBB13_627:                             ;   in Loop: Header=BB13_628 Depth=1
	s_or_b32 exec_lo, exec_lo, s5
	v_lshrrev_b32_e32 v11, 16, v11
	s_delay_alu instid0(VALU_DEP_1) | instskip(SKIP_4) | instid1(VALU_DEP_2)
	v_and_or_b32 v11, 0xffff0000, v17, v11
	global_atomic_cmpswap_b32 v11, v[9:10], v[11:12], off offset:64 glc
	s_waitcnt vmcnt(0)
	v_cmp_eq_u32_e64 s0, v11, v12
	v_mov_b32_e32 v12, v11
	s_or_b32 s1, s0, s1
	s_delay_alu instid0(SALU_CYCLE_1)
	s_and_not1_b32 exec_lo, exec_lo, s1
	s_cbranch_execz .LBB13_636
.LBB13_628:                             ; =>This Inner Loop Header: Depth=1
	s_waitcnt vmcnt(0)
	v_lshlrev_b32_e32 v11, 16, v12
	s_delay_alu instid0(VALU_DEP_1) | instskip(NEXT) | instid1(VALU_DEP_1)
	v_add_f32_e32 v15, v13, v11
	v_and_b32_e32 v11, 0x7f800000, v15
	s_delay_alu instid0(VALU_DEP_1) | instskip(NEXT) | instid1(VALU_DEP_1)
	v_cmp_ne_u32_e64 s0, 0x7f800000, v11
                                        ; implicit-def: $vgpr11
	s_and_saveexec_b32 s5, s0
	s_delay_alu instid0(SALU_CYCLE_1)
	s_xor_b32 s0, exec_lo, s5
; %bb.629:                              ;   in Loop: Header=BB13_628 Depth=1
	v_bfe_u32 v11, v15, 16, 1
	s_delay_alu instid0(VALU_DEP_1)
	v_add3_u32 v11, v15, v11, 0x7fff
                                        ; implicit-def: $vgpr15
; %bb.630:                              ;   in Loop: Header=BB13_628 Depth=1
	s_and_not1_saveexec_b32 s5, s0
; %bb.631:                              ;   in Loop: Header=BB13_628 Depth=1
	v_and_b32_e32 v11, 0xffff, v15
	v_or_b32_e32 v17, 0x10000, v15
	s_delay_alu instid0(VALU_DEP_2) | instskip(NEXT) | instid1(VALU_DEP_1)
	v_cmp_eq_u32_e64 s0, 0, v11
	v_cndmask_b32_e64 v11, v17, v15, s0
; %bb.632:                              ;   in Loop: Header=BB13_628 Depth=1
	s_or_b32 exec_lo, exec_lo, s5
	v_and_b32_e32 v15, 0xffff0000, v12
	s_delay_alu instid0(VALU_DEP_1) | instskip(NEXT) | instid1(VALU_DEP_1)
	v_add_f32_e32 v15, v14, v15
	v_and_b32_e32 v17, 0x7f800000, v15
	s_delay_alu instid0(VALU_DEP_1) | instskip(NEXT) | instid1(VALU_DEP_1)
	v_cmp_ne_u32_e64 s0, 0x7f800000, v17
                                        ; implicit-def: $vgpr17
	s_and_saveexec_b32 s5, s0
	s_delay_alu instid0(SALU_CYCLE_1)
	s_xor_b32 s0, exec_lo, s5
; %bb.633:                              ;   in Loop: Header=BB13_628 Depth=1
	v_bfe_u32 v17, v15, 16, 1
	s_delay_alu instid0(VALU_DEP_1)
	v_add3_u32 v17, v15, v17, 0x7fff
                                        ; implicit-def: $vgpr15
; %bb.634:                              ;   in Loop: Header=BB13_628 Depth=1
	s_and_not1_saveexec_b32 s5, s0
	s_cbranch_execz .LBB13_627
; %bb.635:                              ;   in Loop: Header=BB13_628 Depth=1
	v_and_b32_e32 v17, 0xffff, v15
	v_or_b32_e32 v18, 0x10000, v15
	s_delay_alu instid0(VALU_DEP_2) | instskip(NEXT) | instid1(VALU_DEP_1)
	v_cmp_eq_u32_e64 s0, 0, v17
	v_cndmask_b32_e64 v17, v18, v15, s0
	s_branch .LBB13_627
.LBB13_636:
	s_or_b32 exec_lo, exec_lo, s4
	ds_bpermute_b32 v19, v22, v16
	s_and_saveexec_b32 s1, vcc_lo
	s_cbranch_execz .LBB13_656
; %bb.637:
	v_or3_b32 v18, v46, v39, 14
	v_cmp_gt_i32_e64 s0, s21, v21
	s_delay_alu instid0(VALU_DEP_2) | instskip(NEXT) | instid1(VALU_DEP_2)
	v_cmp_gt_i32_e32 vcc_lo, s20, v18
	s_and_b32 s0, vcc_lo, s0
	s_delay_alu instid0(SALU_CYCLE_1)
	s_and_b32 exec_lo, exec_lo, s0
	s_cbranch_execz .LBB13_656
; %bb.638:
	v_and_b32_e32 v9, 0x7f800000, v16
	s_mov_b32 s0, exec_lo
                                        ; implicit-def: $vgpr17
	s_delay_alu instid0(VALU_DEP_1)
	v_cmpx_ne_u32_e32 0x7f800000, v9
	s_xor_b32 s0, exec_lo, s0
; %bb.639:
	v_bfe_u32 v9, v16, 16, 1
	s_delay_alu instid0(VALU_DEP_1)
	v_add3_u32 v17, v16, v9, 0x7fff
                                        ; implicit-def: $vgpr9_vgpr10_vgpr11_vgpr12_vgpr13_vgpr14_vgpr15_vgpr16
; %bb.640:
	s_and_not1_saveexec_b32 s0, s0
	s_cbranch_execz .LBB13_642
; %bb.641:
	v_and_b32_e32 v9, 0xffff, v16
	s_waitcnt lgkmcnt(1)
	v_or_b32_e32 v10, 0x10000, v16
	s_delay_alu instid0(VALU_DEP_2) | instskip(NEXT) | instid1(VALU_DEP_2)
	v_cmp_eq_u32_e32 vcc_lo, 0, v9
	v_cndmask_b32_e32 v17, v10, v16, vcc_lo
.LBB13_642:
	s_or_b32 exec_lo, exec_lo, s0
	s_waitcnt lgkmcnt(0)
	v_and_b32_e32 v9, 0x7f800000, v19
	s_mov_b32 s0, exec_lo
                                        ; implicit-def: $vgpr11
	s_delay_alu instid0(VALU_DEP_1)
	v_cmpx_ne_u32_e32 0x7f800000, v9
	s_xor_b32 s0, exec_lo, s0
; %bb.643:
	v_bfe_u32 v9, v19, 16, 1
	s_delay_alu instid0(VALU_DEP_1)
	v_add3_u32 v11, v19, v9, 0x7fff
                                        ; implicit-def: $vgpr19
; %bb.644:
	s_and_not1_saveexec_b32 s0, s0
; %bb.645:
	v_and_b32_e32 v9, 0xffff, v19
	v_or_b32_e32 v10, 0x10000, v19
	s_delay_alu instid0(VALU_DEP_2) | instskip(NEXT) | instid1(VALU_DEP_2)
	v_cmp_eq_u32_e32 vcc_lo, 0, v9
	v_cndmask_b32_e32 v11, v10, v19, vcc_lo
; %bb.646:
	s_or_b32 exec_lo, exec_lo, s0
	v_mul_lo_u32 v9, v18, s21
	s_ashr_i32 s0, s3, 31
	v_add_co_u32 v12, s4, s3, v45
	s_delay_alu instid0(VALU_DEP_1) | instskip(SKIP_2) | instid1(VALU_DEP_4)
	v_add_co_ci_u32_e64 v13, null, s0, 0, s4
	v_and_b32_e32 v14, 0xffff0000, v11
	s_mov_b32 s0, 0
	v_ashrrev_i32_e32 v10, 31, v9
	s_delay_alu instid0(VALU_DEP_3) | instskip(NEXT) | instid1(VALU_DEP_2)
	v_lshlrev_b64 v[12:13], 1, v[12:13]
	v_lshlrev_b64 v[9:10], 1, v[9:10]
	s_delay_alu instid0(VALU_DEP_1) | instskip(NEXT) | instid1(VALU_DEP_2)
	v_add_co_u32 v9, vcc_lo, s28, v9
	v_add_co_ci_u32_e32 v10, vcc_lo, s29, v10, vcc_lo
	s_delay_alu instid0(VALU_DEP_2) | instskip(NEXT) | instid1(VALU_DEP_2)
	v_add_co_u32 v9, vcc_lo, v9, v12
	v_add_co_ci_u32_e32 v10, vcc_lo, v10, v13, vcc_lo
	v_and_b32_e32 v13, 0xffff0000, v17
	global_load_b32 v12, v[9:10], off offset:64
	s_branch .LBB13_648
.LBB13_647:                             ;   in Loop: Header=BB13_648 Depth=1
	s_or_b32 exec_lo, exec_lo, s4
	v_lshrrev_b32_e32 v11, 16, v11
	s_delay_alu instid0(VALU_DEP_1)
	v_and_or_b32 v11, 0xffff0000, v16, v11
	global_atomic_cmpswap_b32 v11, v[9:10], v[11:12], off offset:64 glc
	s_waitcnt vmcnt(0)
	v_cmp_eq_u32_e32 vcc_lo, v11, v12
	v_mov_b32_e32 v12, v11
	s_or_b32 s0, vcc_lo, s0
	s_delay_alu instid0(SALU_CYCLE_1)
	s_and_not1_b32 exec_lo, exec_lo, s0
	s_cbranch_execz .LBB13_656
.LBB13_648:                             ; =>This Inner Loop Header: Depth=1
	s_waitcnt vmcnt(0)
	v_lshlrev_b32_e32 v11, 16, v12
	s_delay_alu instid0(VALU_DEP_1) | instskip(NEXT) | instid1(VALU_DEP_1)
	v_add_f32_e32 v15, v13, v11
	v_and_b32_e32 v11, 0x7f800000, v15
	s_delay_alu instid0(VALU_DEP_1) | instskip(SKIP_1) | instid1(SALU_CYCLE_1)
	v_cmp_ne_u32_e32 vcc_lo, 0x7f800000, v11
                                        ; implicit-def: $vgpr11
	s_and_saveexec_b32 s4, vcc_lo
	s_xor_b32 s4, exec_lo, s4
; %bb.649:                              ;   in Loop: Header=BB13_648 Depth=1
	v_bfe_u32 v11, v15, 16, 1
	s_delay_alu instid0(VALU_DEP_1)
	v_add3_u32 v11, v15, v11, 0x7fff
                                        ; implicit-def: $vgpr15
; %bb.650:                              ;   in Loop: Header=BB13_648 Depth=1
	s_and_not1_saveexec_b32 s4, s4
; %bb.651:                              ;   in Loop: Header=BB13_648 Depth=1
	v_and_b32_e32 v11, 0xffff, v15
	v_or_b32_e32 v16, 0x10000, v15
	s_delay_alu instid0(VALU_DEP_2) | instskip(NEXT) | instid1(VALU_DEP_2)
	v_cmp_eq_u32_e32 vcc_lo, 0, v11
	v_cndmask_b32_e32 v11, v16, v15, vcc_lo
; %bb.652:                              ;   in Loop: Header=BB13_648 Depth=1
	s_or_b32 exec_lo, exec_lo, s4
	v_and_b32_e32 v15, 0xffff0000, v12
	s_delay_alu instid0(VALU_DEP_1) | instskip(NEXT) | instid1(VALU_DEP_1)
	v_add_f32_e32 v15, v14, v15
	v_and_b32_e32 v16, 0x7f800000, v15
	s_delay_alu instid0(VALU_DEP_1) | instskip(SKIP_1) | instid1(SALU_CYCLE_1)
	v_cmp_ne_u32_e32 vcc_lo, 0x7f800000, v16
                                        ; implicit-def: $vgpr16
	s_and_saveexec_b32 s4, vcc_lo
	s_xor_b32 s4, exec_lo, s4
; %bb.653:                              ;   in Loop: Header=BB13_648 Depth=1
	v_bfe_u32 v16, v15, 16, 1
	s_delay_alu instid0(VALU_DEP_1)
	v_add3_u32 v16, v15, v16, 0x7fff
                                        ; implicit-def: $vgpr15
; %bb.654:                              ;   in Loop: Header=BB13_648 Depth=1
	s_and_not1_saveexec_b32 s4, s4
	s_cbranch_execz .LBB13_647
; %bb.655:                              ;   in Loop: Header=BB13_648 Depth=1
	v_and_b32_e32 v16, 0xffff, v15
	v_or_b32_e32 v17, 0x10000, v15
	s_delay_alu instid0(VALU_DEP_2) | instskip(NEXT) | instid1(VALU_DEP_2)
	v_cmp_eq_u32_e32 vcc_lo, 0, v16
	v_cndmask_b32_e32 v16, v17, v15, vcc_lo
	s_branch .LBB13_647
.LBB13_656:
	s_or_b32 exec_lo, exec_lo, s1
.LBB13_657:
	s_or_b32 s0, s3, 48
	s_and_b32 vcc_lo, exec_lo, s2
	v_or_b32_e32 v11, s0, v45
	s_mov_b32 s1, -1
	s_delay_alu instid0(VALU_DEP_1)
	v_cmp_gt_i32_e64 s0, s21, v11
	s_cbranch_vccz .LBB13_708
; %bb.658:
	s_delay_alu instid0(VALU_DEP_1)
	s_and_saveexec_b32 s1, s0
	s_cbranch_execz .LBB13_707
; %bb.659:
	v_or_b32_e32 v9, v39, v46
	s_mov_b32 s0, exec_lo
	s_delay_alu instid0(VALU_DEP_1)
	v_cmpx_gt_i32_e64 s20, v9
	s_cbranch_execz .LBB13_665
; %bb.660:
	s_waitcnt lgkmcnt(0)
	v_and_b32_e32 v10, 0x7f800000, v1
	s_delay_alu instid0(VALU_DEP_1) | instskip(SKIP_1) | instid1(SALU_CYCLE_1)
	v_cmp_ne_u32_e32 vcc_lo, 0x7f800000, v10
                                        ; implicit-def: $vgpr10
	s_and_saveexec_b32 s2, vcc_lo
	s_xor_b32 s2, exec_lo, s2
; %bb.661:
	v_bfe_u32 v10, v1, 16, 1
	s_delay_alu instid0(VALU_DEP_1)
	v_add3_u32 v10, v1, v10, 0x7fff
; %bb.662:
	s_and_not1_saveexec_b32 s2, s2
; %bb.663:
	v_and_b32_e32 v10, 0xffff, v1
	v_or_b32_e32 v12, 0x10000, v1
	s_delay_alu instid0(VALU_DEP_2) | instskip(NEXT) | instid1(VALU_DEP_2)
	v_cmp_eq_u32_e32 vcc_lo, 0, v10
	v_cndmask_b32_e32 v10, v12, v1, vcc_lo
; %bb.664:
	s_or_b32 exec_lo, exec_lo, s2
	v_mul_lo_u32 v12, v9, s21
	s_ashr_i32 s2, s3, 31
	v_add_co_u32 v14, s4, s3, v45
	s_delay_alu instid0(VALU_DEP_1) | instskip(NEXT) | instid1(VALU_DEP_3)
	v_add_co_ci_u32_e64 v15, null, s2, 0, s4
	v_ashrrev_i32_e32 v13, 31, v12
	s_delay_alu instid0(VALU_DEP_2) | instskip(NEXT) | instid1(VALU_DEP_2)
	v_lshlrev_b64 v[14:15], 1, v[14:15]
	v_lshlrev_b64 v[12:13], 1, v[12:13]
	s_delay_alu instid0(VALU_DEP_1) | instskip(NEXT) | instid1(VALU_DEP_2)
	v_add_co_u32 v12, vcc_lo, s28, v12
	v_add_co_ci_u32_e32 v13, vcc_lo, s29, v13, vcc_lo
	s_delay_alu instid0(VALU_DEP_2) | instskip(NEXT) | instid1(VALU_DEP_2)
	v_add_co_u32 v12, vcc_lo, v12, v14
	v_add_co_ci_u32_e32 v13, vcc_lo, v13, v15, vcc_lo
	global_store_d16_hi_b16 v[12:13], v10, off offset:96
.LBB13_665:
	s_or_b32 exec_lo, exec_lo, s0
	v_or_b32_e32 v12, 2, v9
	s_mov_b32 s0, exec_lo
	s_delay_alu instid0(VALU_DEP_1)
	v_cmpx_gt_i32_e64 s20, v12
	s_cbranch_execz .LBB13_671
; %bb.666:
	s_waitcnt lgkmcnt(0)
	v_and_b32_e32 v10, 0x7f800000, v2
	s_delay_alu instid0(VALU_DEP_1) | instskip(SKIP_1) | instid1(SALU_CYCLE_1)
	v_cmp_ne_u32_e32 vcc_lo, 0x7f800000, v10
                                        ; implicit-def: $vgpr10
	s_and_saveexec_b32 s2, vcc_lo
	s_xor_b32 s2, exec_lo, s2
; %bb.667:
	v_bfe_u32 v10, v2, 16, 1
	s_delay_alu instid0(VALU_DEP_1)
	v_add3_u32 v10, v2, v10, 0x7fff
; %bb.668:
	s_and_not1_saveexec_b32 s2, s2
; %bb.669:
	v_and_b32_e32 v10, 0xffff, v2
	v_or_b32_e32 v13, 0x10000, v2
	s_delay_alu instid0(VALU_DEP_2) | instskip(NEXT) | instid1(VALU_DEP_2)
	v_cmp_eq_u32_e32 vcc_lo, 0, v10
	v_cndmask_b32_e32 v10, v13, v2, vcc_lo
; %bb.670:
	s_or_b32 exec_lo, exec_lo, s2
	v_mul_lo_u32 v12, v12, s21
	s_ashr_i32 s2, s3, 31
	v_add_co_u32 v14, s4, s3, v45
	s_delay_alu instid0(VALU_DEP_1) | instskip(NEXT) | instid1(VALU_DEP_3)
	v_add_co_ci_u32_e64 v15, null, s2, 0, s4
	v_ashrrev_i32_e32 v13, 31, v12
	s_delay_alu instid0(VALU_DEP_2) | instskip(NEXT) | instid1(VALU_DEP_2)
	v_lshlrev_b64 v[14:15], 1, v[14:15]
	v_lshlrev_b64 v[12:13], 1, v[12:13]
	s_delay_alu instid0(VALU_DEP_1) | instskip(NEXT) | instid1(VALU_DEP_2)
	v_add_co_u32 v12, vcc_lo, s28, v12
	v_add_co_ci_u32_e32 v13, vcc_lo, s29, v13, vcc_lo
	s_delay_alu instid0(VALU_DEP_2) | instskip(NEXT) | instid1(VALU_DEP_2)
	v_add_co_u32 v12, vcc_lo, v12, v14
	v_add_co_ci_u32_e32 v13, vcc_lo, v13, v15, vcc_lo
	global_store_d16_hi_b16 v[12:13], v10, off offset:96
.LBB13_671:
	s_or_b32 exec_lo, exec_lo, s0
	;; [unrolled: 45-line block ×7, first 2 shown]
	s_waitcnt lgkmcnt(0)
	v_or_b32_e32 v10, 14, v9
	s_delay_alu instid0(VALU_DEP_1)
	v_cmp_gt_i32_e32 vcc_lo, s20, v10
	s_and_b32 exec_lo, exec_lo, vcc_lo
	s_cbranch_execz .LBB13_707
; %bb.702:
	v_and_b32_e32 v9, 0x7f800000, v8
	s_delay_alu instid0(VALU_DEP_1) | instskip(SKIP_1) | instid1(SALU_CYCLE_1)
	v_cmp_ne_u32_e32 vcc_lo, 0x7f800000, v9
                                        ; implicit-def: $vgpr9
	s_and_saveexec_b32 s0, vcc_lo
	s_xor_b32 s0, exec_lo, s0
; %bb.703:
	v_bfe_u32 v9, v8, 16, 1
	s_delay_alu instid0(VALU_DEP_1)
	v_add3_u32 v9, v8, v9, 0x7fff
; %bb.704:
	s_and_not1_saveexec_b32 s0, s0
; %bb.705:
	v_and_b32_e32 v9, 0xffff, v8
	v_or_b32_e32 v12, 0x10000, v8
	s_delay_alu instid0(VALU_DEP_2) | instskip(NEXT) | instid1(VALU_DEP_2)
	v_cmp_eq_u32_e32 vcc_lo, 0, v9
	v_cndmask_b32_e32 v9, v12, v8, vcc_lo
; %bb.706:
	s_or_b32 exec_lo, exec_lo, s0
	v_mul_lo_u32 v12, v10, s21
	s_ashr_i32 s0, s3, 31
	v_add_co_u32 v14, s2, s3, v45
	s_delay_alu instid0(VALU_DEP_1) | instskip(NEXT) | instid1(VALU_DEP_3)
	v_add_co_ci_u32_e64 v15, null, s0, 0, s2
	v_ashrrev_i32_e32 v13, 31, v12
	s_delay_alu instid0(VALU_DEP_2) | instskip(NEXT) | instid1(VALU_DEP_2)
	v_lshlrev_b64 v[14:15], 1, v[14:15]
	v_lshlrev_b64 v[12:13], 1, v[12:13]
	s_delay_alu instid0(VALU_DEP_1) | instskip(NEXT) | instid1(VALU_DEP_2)
	v_add_co_u32 v10, vcc_lo, s28, v12
	v_add_co_ci_u32_e32 v13, vcc_lo, s29, v13, vcc_lo
	s_delay_alu instid0(VALU_DEP_2) | instskip(NEXT) | instid1(VALU_DEP_2)
	v_add_co_u32 v12, vcc_lo, v10, v14
	v_add_co_ci_u32_e32 v13, vcc_lo, v13, v15, vcc_lo
	global_store_d16_hi_b16 v[12:13], v9, off offset:96
.LBB13_707:
	s_or_b32 exec_lo, exec_lo, s1
	s_mov_b32 s1, 0
.LBB13_708:
	s_delay_alu instid0(SALU_CYCLE_1)
	s_and_not1_b32 vcc_lo, exec_lo, s1
	s_cbranch_vccnz .LBB13_869
; %bb.709:
	v_xor_b32_e32 v9, 1, v40
	s_delay_alu instid0(VALU_DEP_1) | instskip(SKIP_2) | instid1(VALU_DEP_2)
	v_cmp_gt_i32_e32 vcc_lo, 32, v9
	v_cndmask_b32_e32 v9, v40, v9, vcc_lo
	v_cmp_eq_u32_e32 vcc_lo, 0, v0
	v_lshlrev_b32_e32 v12, 2, v9
	s_waitcnt lgkmcnt(0)
	ds_bpermute_b32 v10, v12, v1
	s_and_saveexec_b32 s2, vcc_lo
	s_cbranch_execz .LBB13_729
; %bb.710:
	v_or_b32_e32 v0, v39, v46
	v_cmp_gt_i32_e64 s1, s21, v11
	s_delay_alu instid0(VALU_DEP_2) | instskip(NEXT) | instid1(VALU_DEP_1)
	v_cmp_gt_i32_e64 s0, s20, v0
	s_and_b32 s0, s0, s1
	s_delay_alu instid0(SALU_CYCLE_1)
	s_and_b32 exec_lo, exec_lo, s0
	s_cbranch_execz .LBB13_729
; %bb.711:
	v_and_b32_e32 v9, 0x7f800000, v1
	s_delay_alu instid0(VALU_DEP_1) | instskip(NEXT) | instid1(VALU_DEP_1)
	v_cmp_ne_u32_e64 s0, 0x7f800000, v9
                                        ; implicit-def: $vgpr9
	s_and_saveexec_b32 s1, s0
	s_delay_alu instid0(SALU_CYCLE_1)
	s_xor_b32 s0, exec_lo, s1
; %bb.712:
	v_bfe_u32 v9, v1, 16, 1
	s_delay_alu instid0(VALU_DEP_1)
	v_add3_u32 v9, v1, v9, 0x7fff
; %bb.713:
	s_and_not1_saveexec_b32 s1, s0
; %bb.714:
	v_and_b32_e32 v9, 0xffff, v1
	v_or_b32_e32 v13, 0x10000, v1
	s_delay_alu instid0(VALU_DEP_2) | instskip(NEXT) | instid1(VALU_DEP_1)
	v_cmp_eq_u32_e64 s0, 0, v9
	v_cndmask_b32_e64 v9, v13, v1, s0
; %bb.715:
	s_or_b32 exec_lo, exec_lo, s1
	s_waitcnt lgkmcnt(0)
	v_and_b32_e32 v1, 0x7f800000, v10
                                        ; implicit-def: $vgpr14
	s_delay_alu instid0(VALU_DEP_1) | instskip(NEXT) | instid1(VALU_DEP_1)
	v_cmp_ne_u32_e64 s0, 0x7f800000, v1
	s_and_saveexec_b32 s1, s0
	s_delay_alu instid0(SALU_CYCLE_1)
	s_xor_b32 s0, exec_lo, s1
; %bb.716:
	v_bfe_u32 v1, v10, 16, 1
	s_delay_alu instid0(VALU_DEP_1)
	v_add3_u32 v14, v10, v1, 0x7fff
                                        ; implicit-def: $vgpr10
; %bb.717:
	s_and_not1_saveexec_b32 s1, s0
; %bb.718:
	v_and_b32_e32 v1, 0xffff, v10
	v_or_b32_e32 v13, 0x10000, v10
	s_delay_alu instid0(VALU_DEP_2) | instskip(NEXT) | instid1(VALU_DEP_1)
	v_cmp_eq_u32_e64 s0, 0, v1
	v_cndmask_b32_e64 v14, v13, v10, s0
; %bb.719:
	s_or_b32 exec_lo, exec_lo, s1
	v_mul_lo_u32 v0, v0, s21
	s_ashr_i32 s0, s3, 31
	v_add_co_u32 v15, s1, s3, v45
	s_delay_alu instid0(VALU_DEP_1) | instskip(SKIP_3) | instid1(VALU_DEP_4)
	v_add_co_ci_u32_e64 v16, null, s0, 0, s1
	v_and_b32_e32 v13, 0xffff0000, v9
	v_and_b32_e32 v14, 0xffff0000, v14
	v_ashrrev_i32_e32 v1, 31, v0
	v_lshlrev_b64 v[15:16], 1, v[15:16]
	s_mov_b32 s1, 0
	s_delay_alu instid0(VALU_DEP_2) | instskip(NEXT) | instid1(VALU_DEP_1)
	v_lshlrev_b64 v[0:1], 1, v[0:1]
	v_add_co_u32 v0, s0, s28, v0
	s_delay_alu instid0(VALU_DEP_1) | instskip(NEXT) | instid1(VALU_DEP_2)
	v_add_co_ci_u32_e64 v1, s0, s29, v1, s0
	v_add_co_u32 v0, s0, v0, v15
	s_delay_alu instid0(VALU_DEP_1)
	v_add_co_ci_u32_e64 v1, s0, v1, v16, s0
	global_load_b32 v10, v[0:1], off offset:96
	s_branch .LBB13_721
.LBB13_720:                             ;   in Loop: Header=BB13_721 Depth=1
	s_or_b32 exec_lo, exec_lo, s4
	v_lshrrev_b32_e32 v9, 16, v9
	s_delay_alu instid0(VALU_DEP_1) | instskip(SKIP_4) | instid1(VALU_DEP_2)
	v_and_or_b32 v9, 0xffff0000, v16, v9
	global_atomic_cmpswap_b32 v9, v[0:1], v[9:10], off offset:96 glc
	s_waitcnt vmcnt(0)
	v_cmp_eq_u32_e64 s0, v9, v10
	v_mov_b32_e32 v10, v9
	s_or_b32 s1, s0, s1
	s_delay_alu instid0(SALU_CYCLE_1)
	s_and_not1_b32 exec_lo, exec_lo, s1
	s_cbranch_execz .LBB13_729
.LBB13_721:                             ; =>This Inner Loop Header: Depth=1
	s_waitcnt vmcnt(0)
	v_lshlrev_b32_e32 v9, 16, v10
	s_delay_alu instid0(VALU_DEP_1) | instskip(NEXT) | instid1(VALU_DEP_1)
	v_add_f32_e32 v15, v13, v9
	v_and_b32_e32 v9, 0x7f800000, v15
	s_delay_alu instid0(VALU_DEP_1) | instskip(NEXT) | instid1(VALU_DEP_1)
	v_cmp_ne_u32_e64 s0, 0x7f800000, v9
                                        ; implicit-def: $vgpr9
	s_and_saveexec_b32 s4, s0
	s_delay_alu instid0(SALU_CYCLE_1)
	s_xor_b32 s0, exec_lo, s4
; %bb.722:                              ;   in Loop: Header=BB13_721 Depth=1
	v_bfe_u32 v9, v15, 16, 1
	s_delay_alu instid0(VALU_DEP_1)
	v_add3_u32 v9, v15, v9, 0x7fff
                                        ; implicit-def: $vgpr15
; %bb.723:                              ;   in Loop: Header=BB13_721 Depth=1
	s_and_not1_saveexec_b32 s4, s0
; %bb.724:                              ;   in Loop: Header=BB13_721 Depth=1
	v_and_b32_e32 v9, 0xffff, v15
	v_or_b32_e32 v16, 0x10000, v15
	s_delay_alu instid0(VALU_DEP_2) | instskip(NEXT) | instid1(VALU_DEP_1)
	v_cmp_eq_u32_e64 s0, 0, v9
	v_cndmask_b32_e64 v9, v16, v15, s0
; %bb.725:                              ;   in Loop: Header=BB13_721 Depth=1
	s_or_b32 exec_lo, exec_lo, s4
	v_and_b32_e32 v15, 0xffff0000, v10
	s_delay_alu instid0(VALU_DEP_1) | instskip(NEXT) | instid1(VALU_DEP_1)
	v_add_f32_e32 v15, v14, v15
	v_and_b32_e32 v16, 0x7f800000, v15
	s_delay_alu instid0(VALU_DEP_1) | instskip(NEXT) | instid1(VALU_DEP_1)
	v_cmp_ne_u32_e64 s0, 0x7f800000, v16
                                        ; implicit-def: $vgpr16
	s_and_saveexec_b32 s4, s0
	s_delay_alu instid0(SALU_CYCLE_1)
	s_xor_b32 s0, exec_lo, s4
; %bb.726:                              ;   in Loop: Header=BB13_721 Depth=1
	v_bfe_u32 v16, v15, 16, 1
	s_delay_alu instid0(VALU_DEP_1)
	v_add3_u32 v16, v15, v16, 0x7fff
                                        ; implicit-def: $vgpr15
; %bb.727:                              ;   in Loop: Header=BB13_721 Depth=1
	s_and_not1_saveexec_b32 s4, s0
	s_cbranch_execz .LBB13_720
; %bb.728:                              ;   in Loop: Header=BB13_721 Depth=1
	v_and_b32_e32 v16, 0xffff, v15
	v_or_b32_e32 v17, 0x10000, v15
	s_delay_alu instid0(VALU_DEP_2) | instskip(NEXT) | instid1(VALU_DEP_1)
	v_cmp_eq_u32_e64 s0, 0, v16
	v_cndmask_b32_e64 v16, v17, v15, s0
	s_branch .LBB13_720
.LBB13_729:
	s_or_b32 exec_lo, exec_lo, s2
	ds_bpermute_b32 v1, v12, v2
	s_and_saveexec_b32 s2, vcc_lo
	s_cbranch_execz .LBB13_749
; %bb.730:
	v_or3_b32 v0, v46, v39, 2
	v_cmp_gt_i32_e64 s1, s21, v11
	s_delay_alu instid0(VALU_DEP_2) | instskip(NEXT) | instid1(VALU_DEP_1)
	v_cmp_gt_i32_e64 s0, s20, v0
	s_and_b32 s0, s0, s1
	s_delay_alu instid0(SALU_CYCLE_1)
	s_and_b32 exec_lo, exec_lo, s0
	s_cbranch_execz .LBB13_749
; %bb.731:
	v_and_b32_e32 v9, 0x7f800000, v2
	s_delay_alu instid0(VALU_DEP_1) | instskip(NEXT) | instid1(VALU_DEP_1)
	v_cmp_ne_u32_e64 s0, 0x7f800000, v9
                                        ; implicit-def: $vgpr9
	s_and_saveexec_b32 s1, s0
	s_delay_alu instid0(SALU_CYCLE_1)
	s_xor_b32 s0, exec_lo, s1
; %bb.732:
	v_bfe_u32 v9, v2, 16, 1
	s_delay_alu instid0(VALU_DEP_1)
	v_add3_u32 v9, v2, v9, 0x7fff
; %bb.733:
	s_and_not1_saveexec_b32 s1, s0
	s_cbranch_execz .LBB13_735
; %bb.734:
	v_and_b32_e32 v9, 0xffff, v2
	s_waitcnt lgkmcnt(1)
	v_or_b32_e32 v10, 0x10000, v2
	s_delay_alu instid0(VALU_DEP_2) | instskip(NEXT) | instid1(VALU_DEP_1)
	v_cmp_eq_u32_e64 s0, 0, v9
	v_cndmask_b32_e64 v9, v10, v2, s0
.LBB13_735:
	s_or_b32 exec_lo, exec_lo, s1
	s_waitcnt lgkmcnt(0)
	v_and_b32_e32 v2, 0x7f800000, v1
                                        ; implicit-def: $vgpr13
	s_delay_alu instid0(VALU_DEP_1) | instskip(NEXT) | instid1(VALU_DEP_1)
	v_cmp_ne_u32_e64 s0, 0x7f800000, v2
	s_and_saveexec_b32 s1, s0
	s_delay_alu instid0(SALU_CYCLE_1)
	s_xor_b32 s0, exec_lo, s1
; %bb.736:
	v_bfe_u32 v2, v1, 16, 1
	s_delay_alu instid0(VALU_DEP_1)
	v_add3_u32 v13, v1, v2, 0x7fff
                                        ; implicit-def: $vgpr1
; %bb.737:
	s_and_not1_saveexec_b32 s1, s0
; %bb.738:
	v_and_b32_e32 v2, 0xffff, v1
	v_or_b32_e32 v10, 0x10000, v1
	s_delay_alu instid0(VALU_DEP_2) | instskip(NEXT) | instid1(VALU_DEP_1)
	v_cmp_eq_u32_e64 s0, 0, v2
	v_cndmask_b32_e64 v13, v10, v1, s0
; %bb.739:
	s_or_b32 exec_lo, exec_lo, s1
	v_mul_lo_u32 v0, v0, s21
	s_ashr_i32 s0, s3, 31
	v_add_co_u32 v14, s1, s3, v45
	s_delay_alu instid0(VALU_DEP_1) | instskip(SKIP_3) | instid1(VALU_DEP_4)
	v_add_co_ci_u32_e64 v15, null, s0, 0, s1
	v_and_b32_e32 v2, 0xffff0000, v9
	v_and_b32_e32 v13, 0xffff0000, v13
	v_ashrrev_i32_e32 v1, 31, v0
	v_lshlrev_b64 v[14:15], 1, v[14:15]
	s_mov_b32 s1, 0
	s_delay_alu instid0(VALU_DEP_2) | instskip(NEXT) | instid1(VALU_DEP_1)
	v_lshlrev_b64 v[0:1], 1, v[0:1]
	v_add_co_u32 v0, s0, s28, v0
	s_delay_alu instid0(VALU_DEP_1) | instskip(NEXT) | instid1(VALU_DEP_2)
	v_add_co_ci_u32_e64 v1, s0, s29, v1, s0
	v_add_co_u32 v0, s0, v0, v14
	s_delay_alu instid0(VALU_DEP_1)
	v_add_co_ci_u32_e64 v1, s0, v1, v15, s0
	global_load_b32 v10, v[0:1], off offset:96
	s_branch .LBB13_741
.LBB13_740:                             ;   in Loop: Header=BB13_741 Depth=1
	s_or_b32 exec_lo, exec_lo, s4
	v_lshrrev_b32_e32 v9, 16, v9
	s_delay_alu instid0(VALU_DEP_1) | instskip(SKIP_4) | instid1(VALU_DEP_2)
	v_and_or_b32 v9, 0xffff0000, v15, v9
	global_atomic_cmpswap_b32 v9, v[0:1], v[9:10], off offset:96 glc
	s_waitcnt vmcnt(0)
	v_cmp_eq_u32_e64 s0, v9, v10
	v_mov_b32_e32 v10, v9
	s_or_b32 s1, s0, s1
	s_delay_alu instid0(SALU_CYCLE_1)
	s_and_not1_b32 exec_lo, exec_lo, s1
	s_cbranch_execz .LBB13_749
.LBB13_741:                             ; =>This Inner Loop Header: Depth=1
	s_waitcnt vmcnt(0)
	v_lshlrev_b32_e32 v9, 16, v10
	s_delay_alu instid0(VALU_DEP_1) | instskip(NEXT) | instid1(VALU_DEP_1)
	v_add_f32_e32 v14, v2, v9
	v_and_b32_e32 v9, 0x7f800000, v14
	s_delay_alu instid0(VALU_DEP_1) | instskip(NEXT) | instid1(VALU_DEP_1)
	v_cmp_ne_u32_e64 s0, 0x7f800000, v9
                                        ; implicit-def: $vgpr9
	s_and_saveexec_b32 s4, s0
	s_delay_alu instid0(SALU_CYCLE_1)
	s_xor_b32 s0, exec_lo, s4
; %bb.742:                              ;   in Loop: Header=BB13_741 Depth=1
	v_bfe_u32 v9, v14, 16, 1
	s_delay_alu instid0(VALU_DEP_1)
	v_add3_u32 v9, v14, v9, 0x7fff
                                        ; implicit-def: $vgpr14
; %bb.743:                              ;   in Loop: Header=BB13_741 Depth=1
	s_and_not1_saveexec_b32 s4, s0
; %bb.744:                              ;   in Loop: Header=BB13_741 Depth=1
	v_and_b32_e32 v9, 0xffff, v14
	v_or_b32_e32 v15, 0x10000, v14
	s_delay_alu instid0(VALU_DEP_2) | instskip(NEXT) | instid1(VALU_DEP_1)
	v_cmp_eq_u32_e64 s0, 0, v9
	v_cndmask_b32_e64 v9, v15, v14, s0
; %bb.745:                              ;   in Loop: Header=BB13_741 Depth=1
	s_or_b32 exec_lo, exec_lo, s4
	v_and_b32_e32 v14, 0xffff0000, v10
	s_delay_alu instid0(VALU_DEP_1) | instskip(NEXT) | instid1(VALU_DEP_1)
	v_add_f32_e32 v14, v13, v14
	v_and_b32_e32 v15, 0x7f800000, v14
	s_delay_alu instid0(VALU_DEP_1) | instskip(NEXT) | instid1(VALU_DEP_1)
	v_cmp_ne_u32_e64 s0, 0x7f800000, v15
                                        ; implicit-def: $vgpr15
	s_and_saveexec_b32 s4, s0
	s_delay_alu instid0(SALU_CYCLE_1)
	s_xor_b32 s0, exec_lo, s4
; %bb.746:                              ;   in Loop: Header=BB13_741 Depth=1
	v_bfe_u32 v15, v14, 16, 1
	s_delay_alu instid0(VALU_DEP_1)
	v_add3_u32 v15, v14, v15, 0x7fff
                                        ; implicit-def: $vgpr14
; %bb.747:                              ;   in Loop: Header=BB13_741 Depth=1
	s_and_not1_saveexec_b32 s4, s0
	s_cbranch_execz .LBB13_740
; %bb.748:                              ;   in Loop: Header=BB13_741 Depth=1
	v_and_b32_e32 v15, 0xffff, v14
	v_or_b32_e32 v16, 0x10000, v14
	s_delay_alu instid0(VALU_DEP_2) | instskip(NEXT) | instid1(VALU_DEP_1)
	v_cmp_eq_u32_e64 s0, 0, v15
	v_cndmask_b32_e64 v15, v16, v14, s0
	s_branch .LBB13_740
.LBB13_749:
	s_or_b32 exec_lo, exec_lo, s2
	s_waitcnt lgkmcnt(0)
	ds_bpermute_b32 v1, v12, v3
	s_and_saveexec_b32 s2, vcc_lo
	s_cbranch_execz .LBB13_769
; %bb.750:
	v_or3_b32 v0, v46, v39, 4
	v_cmp_gt_i32_e64 s1, s21, v11
	s_delay_alu instid0(VALU_DEP_2) | instskip(NEXT) | instid1(VALU_DEP_1)
	v_cmp_gt_i32_e64 s0, s20, v0
	s_and_b32 s0, s0, s1
	s_delay_alu instid0(SALU_CYCLE_1)
	s_and_b32 exec_lo, exec_lo, s0
	s_cbranch_execz .LBB13_769
; %bb.751:
	v_and_b32_e32 v2, 0x7f800000, v3
	s_delay_alu instid0(VALU_DEP_1) | instskip(NEXT) | instid1(VALU_DEP_1)
	v_cmp_ne_u32_e64 s0, 0x7f800000, v2
                                        ; implicit-def: $vgpr2
	s_and_saveexec_b32 s1, s0
	s_delay_alu instid0(SALU_CYCLE_1)
	s_xor_b32 s0, exec_lo, s1
; %bb.752:
	v_bfe_u32 v2, v3, 16, 1
	s_delay_alu instid0(VALU_DEP_1)
	v_add3_u32 v2, v3, v2, 0x7fff
; %bb.753:
	s_and_not1_saveexec_b32 s1, s0
; %bb.754:
	v_and_b32_e32 v2, 0xffff, v3
	v_or_b32_e32 v9, 0x10000, v3
	s_delay_alu instid0(VALU_DEP_2) | instskip(NEXT) | instid1(VALU_DEP_1)
	v_cmp_eq_u32_e64 s0, 0, v2
	v_cndmask_b32_e64 v2, v9, v3, s0
; %bb.755:
	s_or_b32 exec_lo, exec_lo, s1
	s_waitcnt lgkmcnt(0)
	v_and_b32_e32 v3, 0x7f800000, v1
                                        ; implicit-def: $vgpr10
	s_delay_alu instid0(VALU_DEP_1) | instskip(NEXT) | instid1(VALU_DEP_1)
	v_cmp_ne_u32_e64 s0, 0x7f800000, v3
	s_and_saveexec_b32 s1, s0
	s_delay_alu instid0(SALU_CYCLE_1)
	s_xor_b32 s0, exec_lo, s1
; %bb.756:
	v_bfe_u32 v3, v1, 16, 1
	s_delay_alu instid0(VALU_DEP_1)
	v_add3_u32 v10, v1, v3, 0x7fff
                                        ; implicit-def: $vgpr1
; %bb.757:
	s_and_not1_saveexec_b32 s1, s0
; %bb.758:
	v_and_b32_e32 v3, 0xffff, v1
	v_or_b32_e32 v9, 0x10000, v1
	s_delay_alu instid0(VALU_DEP_2) | instskip(NEXT) | instid1(VALU_DEP_1)
	v_cmp_eq_u32_e64 s0, 0, v3
	v_cndmask_b32_e64 v10, v9, v1, s0
; %bb.759:
	s_or_b32 exec_lo, exec_lo, s1
	v_mul_lo_u32 v0, v0, s21
	s_ashr_i32 s0, s3, 31
	v_add_co_u32 v13, s1, s3, v45
	s_delay_alu instid0(VALU_DEP_1) | instskip(SKIP_3) | instid1(VALU_DEP_4)
	v_add_co_ci_u32_e64 v14, null, s0, 0, s1
	v_and_b32_e32 v9, 0xffff0000, v2
	v_and_b32_e32 v10, 0xffff0000, v10
	v_ashrrev_i32_e32 v1, 31, v0
	v_lshlrev_b64 v[13:14], 1, v[13:14]
	s_mov_b32 s1, 0
	s_delay_alu instid0(VALU_DEP_2) | instskip(NEXT) | instid1(VALU_DEP_1)
	v_lshlrev_b64 v[0:1], 1, v[0:1]
	v_add_co_u32 v0, s0, s28, v0
	s_delay_alu instid0(VALU_DEP_1) | instskip(NEXT) | instid1(VALU_DEP_2)
	v_add_co_ci_u32_e64 v1, s0, s29, v1, s0
	v_add_co_u32 v0, s0, v0, v13
	s_delay_alu instid0(VALU_DEP_1)
	v_add_co_ci_u32_e64 v1, s0, v1, v14, s0
	global_load_b32 v3, v[0:1], off offset:96
	s_branch .LBB13_761
.LBB13_760:                             ;   in Loop: Header=BB13_761 Depth=1
	s_or_b32 exec_lo, exec_lo, s4
	v_lshrrev_b32_e32 v2, 16, v2
	s_delay_alu instid0(VALU_DEP_1) | instskip(SKIP_4) | instid1(VALU_DEP_2)
	v_and_or_b32 v2, 0xffff0000, v14, v2
	global_atomic_cmpswap_b32 v2, v[0:1], v[2:3], off offset:96 glc
	s_waitcnt vmcnt(0)
	v_cmp_eq_u32_e64 s0, v2, v3
	v_mov_b32_e32 v3, v2
	s_or_b32 s1, s0, s1
	s_delay_alu instid0(SALU_CYCLE_1)
	s_and_not1_b32 exec_lo, exec_lo, s1
	s_cbranch_execz .LBB13_769
.LBB13_761:                             ; =>This Inner Loop Header: Depth=1
	s_waitcnt vmcnt(0)
	v_lshlrev_b32_e32 v2, 16, v3
	s_delay_alu instid0(VALU_DEP_1) | instskip(NEXT) | instid1(VALU_DEP_1)
	v_add_f32_e32 v13, v9, v2
	v_and_b32_e32 v2, 0x7f800000, v13
	s_delay_alu instid0(VALU_DEP_1) | instskip(NEXT) | instid1(VALU_DEP_1)
	v_cmp_ne_u32_e64 s0, 0x7f800000, v2
                                        ; implicit-def: $vgpr2
	s_and_saveexec_b32 s4, s0
	s_delay_alu instid0(SALU_CYCLE_1)
	s_xor_b32 s0, exec_lo, s4
; %bb.762:                              ;   in Loop: Header=BB13_761 Depth=1
	v_bfe_u32 v2, v13, 16, 1
	s_delay_alu instid0(VALU_DEP_1)
	v_add3_u32 v2, v13, v2, 0x7fff
                                        ; implicit-def: $vgpr13
; %bb.763:                              ;   in Loop: Header=BB13_761 Depth=1
	s_and_not1_saveexec_b32 s4, s0
; %bb.764:                              ;   in Loop: Header=BB13_761 Depth=1
	v_and_b32_e32 v2, 0xffff, v13
	v_or_b32_e32 v14, 0x10000, v13
	s_delay_alu instid0(VALU_DEP_2) | instskip(NEXT) | instid1(VALU_DEP_1)
	v_cmp_eq_u32_e64 s0, 0, v2
	v_cndmask_b32_e64 v2, v14, v13, s0
; %bb.765:                              ;   in Loop: Header=BB13_761 Depth=1
	s_or_b32 exec_lo, exec_lo, s4
	v_and_b32_e32 v13, 0xffff0000, v3
	s_delay_alu instid0(VALU_DEP_1) | instskip(NEXT) | instid1(VALU_DEP_1)
	v_add_f32_e32 v13, v10, v13
	v_and_b32_e32 v14, 0x7f800000, v13
	s_delay_alu instid0(VALU_DEP_1) | instskip(NEXT) | instid1(VALU_DEP_1)
	v_cmp_ne_u32_e64 s0, 0x7f800000, v14
                                        ; implicit-def: $vgpr14
	s_and_saveexec_b32 s4, s0
	s_delay_alu instid0(SALU_CYCLE_1)
	s_xor_b32 s0, exec_lo, s4
; %bb.766:                              ;   in Loop: Header=BB13_761 Depth=1
	v_bfe_u32 v14, v13, 16, 1
	s_delay_alu instid0(VALU_DEP_1)
	v_add3_u32 v14, v13, v14, 0x7fff
                                        ; implicit-def: $vgpr13
; %bb.767:                              ;   in Loop: Header=BB13_761 Depth=1
	s_and_not1_saveexec_b32 s4, s0
	s_cbranch_execz .LBB13_760
; %bb.768:                              ;   in Loop: Header=BB13_761 Depth=1
	v_and_b32_e32 v14, 0xffff, v13
	v_or_b32_e32 v15, 0x10000, v13
	s_delay_alu instid0(VALU_DEP_2) | instskip(NEXT) | instid1(VALU_DEP_1)
	v_cmp_eq_u32_e64 s0, 0, v14
	v_cndmask_b32_e64 v14, v15, v13, s0
	s_branch .LBB13_760
.LBB13_769:
	s_or_b32 exec_lo, exec_lo, s2
	s_waitcnt lgkmcnt(0)
	ds_bpermute_b32 v1, v12, v4
	s_and_saveexec_b32 s2, vcc_lo
	s_cbranch_execz .LBB13_789
; %bb.770:
	v_or3_b32 v0, v46, v39, 6
	v_cmp_gt_i32_e64 s1, s21, v11
	s_delay_alu instid0(VALU_DEP_2) | instskip(NEXT) | instid1(VALU_DEP_1)
	v_cmp_gt_i32_e64 s0, s20, v0
	s_and_b32 s0, s0, s1
	s_delay_alu instid0(SALU_CYCLE_1)
	s_and_b32 exec_lo, exec_lo, s0
	s_cbranch_execz .LBB13_789
; %bb.771:
	v_and_b32_e32 v2, 0x7f800000, v4
	s_delay_alu instid0(VALU_DEP_1) | instskip(NEXT) | instid1(VALU_DEP_1)
	v_cmp_ne_u32_e64 s0, 0x7f800000, v2
                                        ; implicit-def: $vgpr2
	s_and_saveexec_b32 s1, s0
	s_delay_alu instid0(SALU_CYCLE_1)
	s_xor_b32 s0, exec_lo, s1
; %bb.772:
	v_bfe_u32 v2, v4, 16, 1
	s_delay_alu instid0(VALU_DEP_1)
	v_add3_u32 v2, v4, v2, 0x7fff
; %bb.773:
	s_and_not1_saveexec_b32 s1, s0
; %bb.774:
	v_and_b32_e32 v2, 0xffff, v4
	v_or_b32_e32 v3, 0x10000, v4
	s_delay_alu instid0(VALU_DEP_2) | instskip(NEXT) | instid1(VALU_DEP_1)
	v_cmp_eq_u32_e64 s0, 0, v2
	v_cndmask_b32_e64 v2, v3, v4, s0
; %bb.775:
	s_or_b32 exec_lo, exec_lo, s1
	s_waitcnt lgkmcnt(0)
	v_and_b32_e32 v3, 0x7f800000, v1
                                        ; implicit-def: $vgpr9
	s_delay_alu instid0(VALU_DEP_1) | instskip(NEXT) | instid1(VALU_DEP_1)
	v_cmp_ne_u32_e64 s0, 0x7f800000, v3
	s_and_saveexec_b32 s1, s0
	s_delay_alu instid0(SALU_CYCLE_1)
	s_xor_b32 s0, exec_lo, s1
; %bb.776:
	v_bfe_u32 v3, v1, 16, 1
	s_delay_alu instid0(VALU_DEP_1)
	v_add3_u32 v9, v1, v3, 0x7fff
                                        ; implicit-def: $vgpr1
; %bb.777:
	s_and_not1_saveexec_b32 s1, s0
; %bb.778:
	v_and_b32_e32 v3, 0xffff, v1
	v_or_b32_e32 v4, 0x10000, v1
	s_delay_alu instid0(VALU_DEP_2) | instskip(NEXT) | instid1(VALU_DEP_1)
	v_cmp_eq_u32_e64 s0, 0, v3
	v_cndmask_b32_e64 v9, v4, v1, s0
; %bb.779:
	s_or_b32 exec_lo, exec_lo, s1
	v_mul_lo_u32 v0, v0, s21
	s_ashr_i32 s0, s3, 31
	v_add_co_u32 v3, s1, s3, v45
	s_delay_alu instid0(VALU_DEP_1) | instskip(SKIP_2) | instid1(VALU_DEP_4)
	v_add_co_ci_u32_e64 v4, null, s0, 0, s1
	v_and_b32_e32 v9, 0xffff0000, v9
	s_mov_b32 s1, 0
	v_ashrrev_i32_e32 v1, 31, v0
	s_delay_alu instid0(VALU_DEP_3) | instskip(NEXT) | instid1(VALU_DEP_2)
	v_lshlrev_b64 v[3:4], 1, v[3:4]
	v_lshlrev_b64 v[0:1], 1, v[0:1]
	s_delay_alu instid0(VALU_DEP_1) | instskip(NEXT) | instid1(VALU_DEP_1)
	v_add_co_u32 v0, s0, s28, v0
	v_add_co_ci_u32_e64 v1, s0, s29, v1, s0
	s_delay_alu instid0(VALU_DEP_2) | instskip(NEXT) | instid1(VALU_DEP_1)
	v_add_co_u32 v0, s0, v0, v3
	v_add_co_ci_u32_e64 v1, s0, v1, v4, s0
	v_and_b32_e32 v4, 0xffff0000, v2
	global_load_b32 v3, v[0:1], off offset:96
	s_branch .LBB13_781
.LBB13_780:                             ;   in Loop: Header=BB13_781 Depth=1
	s_or_b32 exec_lo, exec_lo, s4
	v_lshrrev_b32_e32 v2, 16, v2
	s_delay_alu instid0(VALU_DEP_1) | instskip(SKIP_4) | instid1(VALU_DEP_2)
	v_and_or_b32 v2, 0xffff0000, v13, v2
	global_atomic_cmpswap_b32 v2, v[0:1], v[2:3], off offset:96 glc
	s_waitcnt vmcnt(0)
	v_cmp_eq_u32_e64 s0, v2, v3
	v_mov_b32_e32 v3, v2
	s_or_b32 s1, s0, s1
	s_delay_alu instid0(SALU_CYCLE_1)
	s_and_not1_b32 exec_lo, exec_lo, s1
	s_cbranch_execz .LBB13_789
.LBB13_781:                             ; =>This Inner Loop Header: Depth=1
	s_waitcnt vmcnt(0)
	v_lshlrev_b32_e32 v2, 16, v3
	s_delay_alu instid0(VALU_DEP_1) | instskip(NEXT) | instid1(VALU_DEP_1)
	v_add_f32_e32 v10, v4, v2
	v_and_b32_e32 v2, 0x7f800000, v10
	s_delay_alu instid0(VALU_DEP_1) | instskip(NEXT) | instid1(VALU_DEP_1)
	v_cmp_ne_u32_e64 s0, 0x7f800000, v2
                                        ; implicit-def: $vgpr2
	s_and_saveexec_b32 s4, s0
	s_delay_alu instid0(SALU_CYCLE_1)
	s_xor_b32 s0, exec_lo, s4
; %bb.782:                              ;   in Loop: Header=BB13_781 Depth=1
	v_bfe_u32 v2, v10, 16, 1
	s_delay_alu instid0(VALU_DEP_1)
	v_add3_u32 v2, v10, v2, 0x7fff
                                        ; implicit-def: $vgpr10
; %bb.783:                              ;   in Loop: Header=BB13_781 Depth=1
	s_and_not1_saveexec_b32 s4, s0
; %bb.784:                              ;   in Loop: Header=BB13_781 Depth=1
	v_and_b32_e32 v2, 0xffff, v10
	v_or_b32_e32 v13, 0x10000, v10
	s_delay_alu instid0(VALU_DEP_2) | instskip(NEXT) | instid1(VALU_DEP_1)
	v_cmp_eq_u32_e64 s0, 0, v2
	v_cndmask_b32_e64 v2, v13, v10, s0
; %bb.785:                              ;   in Loop: Header=BB13_781 Depth=1
	s_or_b32 exec_lo, exec_lo, s4
	v_and_b32_e32 v10, 0xffff0000, v3
	s_delay_alu instid0(VALU_DEP_1) | instskip(NEXT) | instid1(VALU_DEP_1)
	v_add_f32_e32 v10, v9, v10
	v_and_b32_e32 v13, 0x7f800000, v10
	s_delay_alu instid0(VALU_DEP_1) | instskip(NEXT) | instid1(VALU_DEP_1)
	v_cmp_ne_u32_e64 s0, 0x7f800000, v13
                                        ; implicit-def: $vgpr13
	s_and_saveexec_b32 s4, s0
	s_delay_alu instid0(SALU_CYCLE_1)
	s_xor_b32 s0, exec_lo, s4
; %bb.786:                              ;   in Loop: Header=BB13_781 Depth=1
	v_bfe_u32 v13, v10, 16, 1
	s_delay_alu instid0(VALU_DEP_1)
	v_add3_u32 v13, v10, v13, 0x7fff
                                        ; implicit-def: $vgpr10
; %bb.787:                              ;   in Loop: Header=BB13_781 Depth=1
	s_and_not1_saveexec_b32 s4, s0
	s_cbranch_execz .LBB13_780
; %bb.788:                              ;   in Loop: Header=BB13_781 Depth=1
	v_and_b32_e32 v13, 0xffff, v10
	v_or_b32_e32 v14, 0x10000, v10
	s_delay_alu instid0(VALU_DEP_2) | instskip(NEXT) | instid1(VALU_DEP_1)
	v_cmp_eq_u32_e64 s0, 0, v13
	v_cndmask_b32_e64 v13, v14, v10, s0
	s_branch .LBB13_780
.LBB13_789:
	s_or_b32 exec_lo, exec_lo, s2
	s_waitcnt lgkmcnt(0)
	ds_bpermute_b32 v1, v12, v5
	s_and_saveexec_b32 s2, vcc_lo
	s_cbranch_execz .LBB13_809
; %bb.790:
	v_or3_b32 v0, v46, v39, 8
	v_cmp_gt_i32_e64 s1, s21, v11
	s_delay_alu instid0(VALU_DEP_2) | instskip(NEXT) | instid1(VALU_DEP_1)
	v_cmp_gt_i32_e64 s0, s20, v0
	s_and_b32 s0, s0, s1
	s_delay_alu instid0(SALU_CYCLE_1)
	s_and_b32 exec_lo, exec_lo, s0
	s_cbranch_execz .LBB13_809
; %bb.791:
	v_and_b32_e32 v2, 0x7f800000, v5
	s_delay_alu instid0(VALU_DEP_1) | instskip(NEXT) | instid1(VALU_DEP_1)
	v_cmp_ne_u32_e64 s0, 0x7f800000, v2
                                        ; implicit-def: $vgpr2
	s_and_saveexec_b32 s1, s0
	s_delay_alu instid0(SALU_CYCLE_1)
	s_xor_b32 s0, exec_lo, s1
; %bb.792:
	v_bfe_u32 v2, v5, 16, 1
	s_delay_alu instid0(VALU_DEP_1)
	v_add3_u32 v2, v5, v2, 0x7fff
; %bb.793:
	s_and_not1_saveexec_b32 s1, s0
; %bb.794:
	v_and_b32_e32 v2, 0xffff, v5
	v_or_b32_e32 v3, 0x10000, v5
	s_delay_alu instid0(VALU_DEP_2) | instskip(NEXT) | instid1(VALU_DEP_1)
	v_cmp_eq_u32_e64 s0, 0, v2
	v_cndmask_b32_e64 v2, v3, v5, s0
; %bb.795:
	s_or_b32 exec_lo, exec_lo, s1
	s_waitcnt lgkmcnt(0)
	v_and_b32_e32 v3, 0x7f800000, v1
                                        ; implicit-def: $vgpr5
	s_delay_alu instid0(VALU_DEP_1) | instskip(NEXT) | instid1(VALU_DEP_1)
	v_cmp_ne_u32_e64 s0, 0x7f800000, v3
	s_and_saveexec_b32 s1, s0
	s_delay_alu instid0(SALU_CYCLE_1)
	s_xor_b32 s0, exec_lo, s1
; %bb.796:
	v_bfe_u32 v3, v1, 16, 1
	s_delay_alu instid0(VALU_DEP_1)
	v_add3_u32 v5, v1, v3, 0x7fff
                                        ; implicit-def: $vgpr1
; %bb.797:
	s_and_not1_saveexec_b32 s1, s0
; %bb.798:
	v_and_b32_e32 v3, 0xffff, v1
	v_or_b32_e32 v4, 0x10000, v1
	s_delay_alu instid0(VALU_DEP_2) | instskip(NEXT) | instid1(VALU_DEP_1)
	v_cmp_eq_u32_e64 s0, 0, v3
	v_cndmask_b32_e64 v5, v4, v1, s0
; %bb.799:
	s_or_b32 exec_lo, exec_lo, s1
	v_mul_lo_u32 v0, v0, s21
	s_ashr_i32 s0, s3, 31
	v_add_co_u32 v3, s1, s3, v45
	s_delay_alu instid0(VALU_DEP_1) | instskip(SKIP_2) | instid1(VALU_DEP_4)
	v_add_co_ci_u32_e64 v4, null, s0, 0, s1
	v_and_b32_e32 v5, 0xffff0000, v5
	s_mov_b32 s1, 0
	v_ashrrev_i32_e32 v1, 31, v0
	s_delay_alu instid0(VALU_DEP_3) | instskip(NEXT) | instid1(VALU_DEP_2)
	v_lshlrev_b64 v[3:4], 1, v[3:4]
	v_lshlrev_b64 v[0:1], 1, v[0:1]
	s_delay_alu instid0(VALU_DEP_1) | instskip(NEXT) | instid1(VALU_DEP_1)
	v_add_co_u32 v0, s0, s28, v0
	v_add_co_ci_u32_e64 v1, s0, s29, v1, s0
	s_delay_alu instid0(VALU_DEP_2) | instskip(NEXT) | instid1(VALU_DEP_1)
	v_add_co_u32 v0, s0, v0, v3
	v_add_co_ci_u32_e64 v1, s0, v1, v4, s0
	v_and_b32_e32 v4, 0xffff0000, v2
	global_load_b32 v3, v[0:1], off offset:96
	s_branch .LBB13_801
.LBB13_800:                             ;   in Loop: Header=BB13_801 Depth=1
	s_or_b32 exec_lo, exec_lo, s4
	v_lshrrev_b32_e32 v2, 16, v2
	s_delay_alu instid0(VALU_DEP_1) | instskip(SKIP_4) | instid1(VALU_DEP_2)
	v_and_or_b32 v2, 0xffff0000, v10, v2
	global_atomic_cmpswap_b32 v2, v[0:1], v[2:3], off offset:96 glc
	s_waitcnt vmcnt(0)
	v_cmp_eq_u32_e64 s0, v2, v3
	v_mov_b32_e32 v3, v2
	s_or_b32 s1, s0, s1
	s_delay_alu instid0(SALU_CYCLE_1)
	s_and_not1_b32 exec_lo, exec_lo, s1
	s_cbranch_execz .LBB13_809
.LBB13_801:                             ; =>This Inner Loop Header: Depth=1
	s_waitcnt vmcnt(0)
	v_lshlrev_b32_e32 v2, 16, v3
	s_delay_alu instid0(VALU_DEP_1) | instskip(NEXT) | instid1(VALU_DEP_1)
	v_add_f32_e32 v9, v4, v2
	v_and_b32_e32 v2, 0x7f800000, v9
	s_delay_alu instid0(VALU_DEP_1) | instskip(NEXT) | instid1(VALU_DEP_1)
	v_cmp_ne_u32_e64 s0, 0x7f800000, v2
                                        ; implicit-def: $vgpr2
	s_and_saveexec_b32 s4, s0
	s_delay_alu instid0(SALU_CYCLE_1)
	s_xor_b32 s0, exec_lo, s4
; %bb.802:                              ;   in Loop: Header=BB13_801 Depth=1
	v_bfe_u32 v2, v9, 16, 1
	s_delay_alu instid0(VALU_DEP_1)
	v_add3_u32 v2, v9, v2, 0x7fff
                                        ; implicit-def: $vgpr9
; %bb.803:                              ;   in Loop: Header=BB13_801 Depth=1
	s_and_not1_saveexec_b32 s4, s0
; %bb.804:                              ;   in Loop: Header=BB13_801 Depth=1
	v_and_b32_e32 v2, 0xffff, v9
	v_or_b32_e32 v10, 0x10000, v9
	s_delay_alu instid0(VALU_DEP_2) | instskip(NEXT) | instid1(VALU_DEP_1)
	v_cmp_eq_u32_e64 s0, 0, v2
	v_cndmask_b32_e64 v2, v10, v9, s0
; %bb.805:                              ;   in Loop: Header=BB13_801 Depth=1
	s_or_b32 exec_lo, exec_lo, s4
	v_and_b32_e32 v9, 0xffff0000, v3
	s_delay_alu instid0(VALU_DEP_1) | instskip(NEXT) | instid1(VALU_DEP_1)
	v_add_f32_e32 v9, v5, v9
	v_and_b32_e32 v10, 0x7f800000, v9
	s_delay_alu instid0(VALU_DEP_1) | instskip(NEXT) | instid1(VALU_DEP_1)
	v_cmp_ne_u32_e64 s0, 0x7f800000, v10
                                        ; implicit-def: $vgpr10
	s_and_saveexec_b32 s4, s0
	s_delay_alu instid0(SALU_CYCLE_1)
	s_xor_b32 s0, exec_lo, s4
; %bb.806:                              ;   in Loop: Header=BB13_801 Depth=1
	v_bfe_u32 v10, v9, 16, 1
	s_delay_alu instid0(VALU_DEP_1)
	v_add3_u32 v10, v9, v10, 0x7fff
                                        ; implicit-def: $vgpr9
; %bb.807:                              ;   in Loop: Header=BB13_801 Depth=1
	s_and_not1_saveexec_b32 s4, s0
	s_cbranch_execz .LBB13_800
; %bb.808:                              ;   in Loop: Header=BB13_801 Depth=1
	v_and_b32_e32 v10, 0xffff, v9
	v_or_b32_e32 v13, 0x10000, v9
	s_delay_alu instid0(VALU_DEP_2) | instskip(NEXT) | instid1(VALU_DEP_1)
	v_cmp_eq_u32_e64 s0, 0, v10
	v_cndmask_b32_e64 v10, v13, v9, s0
	s_branch .LBB13_800
.LBB13_809:
	s_or_b32 exec_lo, exec_lo, s2
	s_waitcnt lgkmcnt(0)
	ds_bpermute_b32 v1, v12, v6
	s_and_saveexec_b32 s2, vcc_lo
	s_cbranch_execz .LBB13_829
; %bb.810:
	v_or3_b32 v0, v46, v39, 10
	v_cmp_gt_i32_e64 s1, s21, v11
	s_delay_alu instid0(VALU_DEP_2) | instskip(NEXT) | instid1(VALU_DEP_1)
	v_cmp_gt_i32_e64 s0, s20, v0
	s_and_b32 s0, s0, s1
	s_delay_alu instid0(SALU_CYCLE_1)
	s_and_b32 exec_lo, exec_lo, s0
	s_cbranch_execz .LBB13_829
; %bb.811:
	v_and_b32_e32 v2, 0x7f800000, v6
	s_delay_alu instid0(VALU_DEP_1) | instskip(NEXT) | instid1(VALU_DEP_1)
	v_cmp_ne_u32_e64 s0, 0x7f800000, v2
                                        ; implicit-def: $vgpr2
	s_and_saveexec_b32 s1, s0
	s_delay_alu instid0(SALU_CYCLE_1)
	s_xor_b32 s0, exec_lo, s1
; %bb.812:
	v_bfe_u32 v2, v6, 16, 1
	s_delay_alu instid0(VALU_DEP_1)
	v_add3_u32 v2, v6, v2, 0x7fff
; %bb.813:
	s_and_not1_saveexec_b32 s1, s0
; %bb.814:
	v_and_b32_e32 v2, 0xffff, v6
	v_or_b32_e32 v3, 0x10000, v6
	s_delay_alu instid0(VALU_DEP_2) | instskip(NEXT) | instid1(VALU_DEP_1)
	v_cmp_eq_u32_e64 s0, 0, v2
	v_cndmask_b32_e64 v2, v3, v6, s0
; %bb.815:
	s_or_b32 exec_lo, exec_lo, s1
	s_waitcnt lgkmcnt(0)
	v_and_b32_e32 v3, 0x7f800000, v1
                                        ; implicit-def: $vgpr5
	s_delay_alu instid0(VALU_DEP_1) | instskip(NEXT) | instid1(VALU_DEP_1)
	v_cmp_ne_u32_e64 s0, 0x7f800000, v3
	s_and_saveexec_b32 s1, s0
	s_delay_alu instid0(SALU_CYCLE_1)
	s_xor_b32 s0, exec_lo, s1
; %bb.816:
	v_bfe_u32 v3, v1, 16, 1
	s_delay_alu instid0(VALU_DEP_1)
	v_add3_u32 v5, v1, v3, 0x7fff
                                        ; implicit-def: $vgpr1
; %bb.817:
	s_and_not1_saveexec_b32 s1, s0
; %bb.818:
	v_and_b32_e32 v3, 0xffff, v1
	v_or_b32_e32 v4, 0x10000, v1
	s_delay_alu instid0(VALU_DEP_2) | instskip(NEXT) | instid1(VALU_DEP_1)
	v_cmp_eq_u32_e64 s0, 0, v3
	v_cndmask_b32_e64 v5, v4, v1, s0
; %bb.819:
	s_or_b32 exec_lo, exec_lo, s1
	v_mul_lo_u32 v0, v0, s21
	s_ashr_i32 s0, s3, 31
	v_add_co_u32 v3, s1, s3, v45
	s_delay_alu instid0(VALU_DEP_1) | instskip(SKIP_2) | instid1(VALU_DEP_4)
	v_add_co_ci_u32_e64 v4, null, s0, 0, s1
	v_and_b32_e32 v5, 0xffff0000, v5
	s_mov_b32 s1, 0
	v_ashrrev_i32_e32 v1, 31, v0
	s_delay_alu instid0(VALU_DEP_3) | instskip(NEXT) | instid1(VALU_DEP_2)
	v_lshlrev_b64 v[3:4], 1, v[3:4]
	v_lshlrev_b64 v[0:1], 1, v[0:1]
	s_delay_alu instid0(VALU_DEP_1) | instskip(NEXT) | instid1(VALU_DEP_1)
	v_add_co_u32 v0, s0, s28, v0
	v_add_co_ci_u32_e64 v1, s0, s29, v1, s0
	s_delay_alu instid0(VALU_DEP_2) | instskip(NEXT) | instid1(VALU_DEP_1)
	v_add_co_u32 v0, s0, v0, v3
	v_add_co_ci_u32_e64 v1, s0, v1, v4, s0
	v_and_b32_e32 v4, 0xffff0000, v2
	global_load_b32 v3, v[0:1], off offset:96
	s_branch .LBB13_821
.LBB13_820:                             ;   in Loop: Header=BB13_821 Depth=1
	s_or_b32 exec_lo, exec_lo, s4
	v_lshrrev_b32_e32 v2, 16, v2
	s_delay_alu instid0(VALU_DEP_1) | instskip(SKIP_4) | instid1(VALU_DEP_2)
	v_and_or_b32 v2, 0xffff0000, v9, v2
	global_atomic_cmpswap_b32 v2, v[0:1], v[2:3], off offset:96 glc
	s_waitcnt vmcnt(0)
	v_cmp_eq_u32_e64 s0, v2, v3
	v_mov_b32_e32 v3, v2
	s_or_b32 s1, s0, s1
	s_delay_alu instid0(SALU_CYCLE_1)
	s_and_not1_b32 exec_lo, exec_lo, s1
	s_cbranch_execz .LBB13_829
.LBB13_821:                             ; =>This Inner Loop Header: Depth=1
	s_waitcnt vmcnt(0)
	v_lshlrev_b32_e32 v2, 16, v3
	s_delay_alu instid0(VALU_DEP_1) | instskip(NEXT) | instid1(VALU_DEP_1)
	v_add_f32_e32 v6, v4, v2
	v_and_b32_e32 v2, 0x7f800000, v6
	s_delay_alu instid0(VALU_DEP_1) | instskip(NEXT) | instid1(VALU_DEP_1)
	v_cmp_ne_u32_e64 s0, 0x7f800000, v2
                                        ; implicit-def: $vgpr2
	s_and_saveexec_b32 s4, s0
	s_delay_alu instid0(SALU_CYCLE_1)
	s_xor_b32 s0, exec_lo, s4
; %bb.822:                              ;   in Loop: Header=BB13_821 Depth=1
	v_bfe_u32 v2, v6, 16, 1
	s_delay_alu instid0(VALU_DEP_1)
	v_add3_u32 v2, v6, v2, 0x7fff
                                        ; implicit-def: $vgpr6
; %bb.823:                              ;   in Loop: Header=BB13_821 Depth=1
	s_and_not1_saveexec_b32 s4, s0
; %bb.824:                              ;   in Loop: Header=BB13_821 Depth=1
	v_and_b32_e32 v2, 0xffff, v6
	v_or_b32_e32 v9, 0x10000, v6
	s_delay_alu instid0(VALU_DEP_2) | instskip(NEXT) | instid1(VALU_DEP_1)
	v_cmp_eq_u32_e64 s0, 0, v2
	v_cndmask_b32_e64 v2, v9, v6, s0
; %bb.825:                              ;   in Loop: Header=BB13_821 Depth=1
	s_or_b32 exec_lo, exec_lo, s4
	v_and_b32_e32 v6, 0xffff0000, v3
	s_delay_alu instid0(VALU_DEP_1) | instskip(NEXT) | instid1(VALU_DEP_1)
	v_add_f32_e32 v6, v5, v6
	v_and_b32_e32 v9, 0x7f800000, v6
	s_delay_alu instid0(VALU_DEP_1) | instskip(NEXT) | instid1(VALU_DEP_1)
	v_cmp_ne_u32_e64 s0, 0x7f800000, v9
                                        ; implicit-def: $vgpr9
	s_and_saveexec_b32 s4, s0
	s_delay_alu instid0(SALU_CYCLE_1)
	s_xor_b32 s0, exec_lo, s4
; %bb.826:                              ;   in Loop: Header=BB13_821 Depth=1
	v_bfe_u32 v9, v6, 16, 1
	s_delay_alu instid0(VALU_DEP_1)
	v_add3_u32 v9, v6, v9, 0x7fff
                                        ; implicit-def: $vgpr6
; %bb.827:                              ;   in Loop: Header=BB13_821 Depth=1
	s_and_not1_saveexec_b32 s4, s0
	s_cbranch_execz .LBB13_820
; %bb.828:                              ;   in Loop: Header=BB13_821 Depth=1
	v_and_b32_e32 v9, 0xffff, v6
	v_or_b32_e32 v10, 0x10000, v6
	s_delay_alu instid0(VALU_DEP_2) | instskip(NEXT) | instid1(VALU_DEP_1)
	v_cmp_eq_u32_e64 s0, 0, v9
	v_cndmask_b32_e64 v9, v10, v6, s0
	s_branch .LBB13_820
.LBB13_829:
	s_or_b32 exec_lo, exec_lo, s2
	s_waitcnt lgkmcnt(0)
	ds_bpermute_b32 v1, v12, v7
	s_and_saveexec_b32 s2, vcc_lo
	s_cbranch_execz .LBB13_849
; %bb.830:
	v_or3_b32 v0, v46, v39, 12
	v_cmp_gt_i32_e64 s1, s21, v11
	s_delay_alu instid0(VALU_DEP_2) | instskip(NEXT) | instid1(VALU_DEP_1)
	v_cmp_gt_i32_e64 s0, s20, v0
	s_and_b32 s0, s0, s1
	s_delay_alu instid0(SALU_CYCLE_1)
	s_and_b32 exec_lo, exec_lo, s0
	s_cbranch_execz .LBB13_849
; %bb.831:
	v_and_b32_e32 v2, 0x7f800000, v7
	s_delay_alu instid0(VALU_DEP_1) | instskip(NEXT) | instid1(VALU_DEP_1)
	v_cmp_ne_u32_e64 s0, 0x7f800000, v2
                                        ; implicit-def: $vgpr2
	s_and_saveexec_b32 s1, s0
	s_delay_alu instid0(SALU_CYCLE_1)
	s_xor_b32 s0, exec_lo, s1
; %bb.832:
	v_bfe_u32 v2, v7, 16, 1
	s_delay_alu instid0(VALU_DEP_1)
	v_add3_u32 v2, v7, v2, 0x7fff
; %bb.833:
	s_and_not1_saveexec_b32 s1, s0
; %bb.834:
	v_and_b32_e32 v2, 0xffff, v7
	v_or_b32_e32 v3, 0x10000, v7
	s_delay_alu instid0(VALU_DEP_2) | instskip(NEXT) | instid1(VALU_DEP_1)
	v_cmp_eq_u32_e64 s0, 0, v2
	v_cndmask_b32_e64 v2, v3, v7, s0
; %bb.835:
	s_or_b32 exec_lo, exec_lo, s1
	s_waitcnt lgkmcnt(0)
	v_and_b32_e32 v3, 0x7f800000, v1
                                        ; implicit-def: $vgpr5
	s_delay_alu instid0(VALU_DEP_1) | instskip(NEXT) | instid1(VALU_DEP_1)
	v_cmp_ne_u32_e64 s0, 0x7f800000, v3
	s_and_saveexec_b32 s1, s0
	s_delay_alu instid0(SALU_CYCLE_1)
	s_xor_b32 s0, exec_lo, s1
; %bb.836:
	v_bfe_u32 v3, v1, 16, 1
	s_delay_alu instid0(VALU_DEP_1)
	v_add3_u32 v5, v1, v3, 0x7fff
                                        ; implicit-def: $vgpr1
; %bb.837:
	s_and_not1_saveexec_b32 s1, s0
; %bb.838:
	v_and_b32_e32 v3, 0xffff, v1
	v_or_b32_e32 v4, 0x10000, v1
	s_delay_alu instid0(VALU_DEP_2) | instskip(NEXT) | instid1(VALU_DEP_1)
	v_cmp_eq_u32_e64 s0, 0, v3
	v_cndmask_b32_e64 v5, v4, v1, s0
; %bb.839:
	s_or_b32 exec_lo, exec_lo, s1
	v_mul_lo_u32 v0, v0, s21
	s_ashr_i32 s0, s3, 31
	v_add_co_u32 v3, s1, s3, v45
	s_delay_alu instid0(VALU_DEP_1) | instskip(SKIP_2) | instid1(VALU_DEP_4)
	v_add_co_ci_u32_e64 v4, null, s0, 0, s1
	v_and_b32_e32 v5, 0xffff0000, v5
	s_mov_b32 s1, 0
	v_ashrrev_i32_e32 v1, 31, v0
	s_delay_alu instid0(VALU_DEP_3) | instskip(NEXT) | instid1(VALU_DEP_2)
	v_lshlrev_b64 v[3:4], 1, v[3:4]
	v_lshlrev_b64 v[0:1], 1, v[0:1]
	s_delay_alu instid0(VALU_DEP_1) | instskip(NEXT) | instid1(VALU_DEP_1)
	v_add_co_u32 v0, s0, s28, v0
	v_add_co_ci_u32_e64 v1, s0, s29, v1, s0
	s_delay_alu instid0(VALU_DEP_2) | instskip(NEXT) | instid1(VALU_DEP_1)
	v_add_co_u32 v0, s0, v0, v3
	v_add_co_ci_u32_e64 v1, s0, v1, v4, s0
	v_and_b32_e32 v4, 0xffff0000, v2
	global_load_b32 v3, v[0:1], off offset:96
	s_branch .LBB13_841
.LBB13_840:                             ;   in Loop: Header=BB13_841 Depth=1
	s_or_b32 exec_lo, exec_lo, s4
	v_lshrrev_b32_e32 v2, 16, v2
	s_delay_alu instid0(VALU_DEP_1) | instskip(SKIP_4) | instid1(VALU_DEP_2)
	v_and_or_b32 v2, 0xffff0000, v7, v2
	global_atomic_cmpswap_b32 v2, v[0:1], v[2:3], off offset:96 glc
	s_waitcnt vmcnt(0)
	v_cmp_eq_u32_e64 s0, v2, v3
	v_mov_b32_e32 v3, v2
	s_or_b32 s1, s0, s1
	s_delay_alu instid0(SALU_CYCLE_1)
	s_and_not1_b32 exec_lo, exec_lo, s1
	s_cbranch_execz .LBB13_849
.LBB13_841:                             ; =>This Inner Loop Header: Depth=1
	s_waitcnt vmcnt(0)
	v_lshlrev_b32_e32 v2, 16, v3
	s_delay_alu instid0(VALU_DEP_1) | instskip(NEXT) | instid1(VALU_DEP_1)
	v_add_f32_e32 v6, v4, v2
	v_and_b32_e32 v2, 0x7f800000, v6
	s_delay_alu instid0(VALU_DEP_1) | instskip(NEXT) | instid1(VALU_DEP_1)
	v_cmp_ne_u32_e64 s0, 0x7f800000, v2
                                        ; implicit-def: $vgpr2
	s_and_saveexec_b32 s4, s0
	s_delay_alu instid0(SALU_CYCLE_1)
	s_xor_b32 s0, exec_lo, s4
; %bb.842:                              ;   in Loop: Header=BB13_841 Depth=1
	v_bfe_u32 v2, v6, 16, 1
	s_delay_alu instid0(VALU_DEP_1)
	v_add3_u32 v2, v6, v2, 0x7fff
                                        ; implicit-def: $vgpr6
; %bb.843:                              ;   in Loop: Header=BB13_841 Depth=1
	s_and_not1_saveexec_b32 s4, s0
; %bb.844:                              ;   in Loop: Header=BB13_841 Depth=1
	v_and_b32_e32 v2, 0xffff, v6
	v_or_b32_e32 v7, 0x10000, v6
	s_delay_alu instid0(VALU_DEP_2) | instskip(NEXT) | instid1(VALU_DEP_1)
	v_cmp_eq_u32_e64 s0, 0, v2
	v_cndmask_b32_e64 v2, v7, v6, s0
; %bb.845:                              ;   in Loop: Header=BB13_841 Depth=1
	s_or_b32 exec_lo, exec_lo, s4
	v_and_b32_e32 v6, 0xffff0000, v3
	s_delay_alu instid0(VALU_DEP_1) | instskip(NEXT) | instid1(VALU_DEP_1)
	v_add_f32_e32 v6, v5, v6
	v_and_b32_e32 v7, 0x7f800000, v6
	s_delay_alu instid0(VALU_DEP_1) | instskip(NEXT) | instid1(VALU_DEP_1)
	v_cmp_ne_u32_e64 s0, 0x7f800000, v7
                                        ; implicit-def: $vgpr7
	s_and_saveexec_b32 s4, s0
	s_delay_alu instid0(SALU_CYCLE_1)
	s_xor_b32 s0, exec_lo, s4
; %bb.846:                              ;   in Loop: Header=BB13_841 Depth=1
	v_bfe_u32 v7, v6, 16, 1
	s_delay_alu instid0(VALU_DEP_1)
	v_add3_u32 v7, v6, v7, 0x7fff
                                        ; implicit-def: $vgpr6
; %bb.847:                              ;   in Loop: Header=BB13_841 Depth=1
	s_and_not1_saveexec_b32 s4, s0
	s_cbranch_execz .LBB13_840
; %bb.848:                              ;   in Loop: Header=BB13_841 Depth=1
	v_and_b32_e32 v7, 0xffff, v6
	v_or_b32_e32 v9, 0x10000, v6
	s_delay_alu instid0(VALU_DEP_2) | instskip(NEXT) | instid1(VALU_DEP_1)
	v_cmp_eq_u32_e64 s0, 0, v7
	v_cndmask_b32_e64 v7, v9, v6, s0
	s_branch .LBB13_840
.LBB13_849:
	s_or_b32 exec_lo, exec_lo, s2
	ds_bpermute_b32 v10, v12, v8
	s_and_saveexec_b32 s0, vcc_lo
	s_cbranch_execz .LBB13_869
; %bb.850:
	v_or3_b32 v0, v46, v39, 14
	v_cmp_gt_i32_e64 s0, s21, v11
	s_delay_alu instid0(VALU_DEP_2) | instskip(NEXT) | instid1(VALU_DEP_2)
	v_cmp_gt_i32_e32 vcc_lo, s20, v0
	s_and_b32 s0, vcc_lo, s0
	s_delay_alu instid0(SALU_CYCLE_1)
	s_and_b32 exec_lo, exec_lo, s0
	s_cbranch_execz .LBB13_869
; %bb.851:
	s_waitcnt lgkmcnt(1)
	v_and_b32_e32 v1, 0x7f800000, v8
	s_mov_b32 s0, exec_lo
                                        ; implicit-def: $vgpr9
	s_delay_alu instid0(VALU_DEP_1)
	v_cmpx_ne_u32_e32 0x7f800000, v1
	s_xor_b32 s0, exec_lo, s0
; %bb.852:
	v_bfe_u32 v1, v8, 16, 1
	s_delay_alu instid0(VALU_DEP_1)
	v_add3_u32 v9, v8, v1, 0x7fff
                                        ; implicit-def: $vgpr1_vgpr2_vgpr3_vgpr4_vgpr5_vgpr6_vgpr7_vgpr8
; %bb.853:
	s_and_not1_saveexec_b32 s0, s0
; %bb.854:
	v_and_b32_e32 v1, 0xffff, v8
	v_or_b32_e32 v2, 0x10000, v8
	s_delay_alu instid0(VALU_DEP_2) | instskip(NEXT) | instid1(VALU_DEP_2)
	v_cmp_eq_u32_e32 vcc_lo, 0, v1
	v_cndmask_b32_e32 v9, v2, v8, vcc_lo
; %bb.855:
	s_or_b32 exec_lo, exec_lo, s0
	s_waitcnt lgkmcnt(0)
	v_and_b32_e32 v1, 0x7f800000, v10
	s_mov_b32 s0, exec_lo
                                        ; implicit-def: $vgpr2
	s_delay_alu instid0(VALU_DEP_1)
	v_cmpx_ne_u32_e32 0x7f800000, v1
	s_xor_b32 s0, exec_lo, s0
; %bb.856:
	v_bfe_u32 v1, v10, 16, 1
	s_delay_alu instid0(VALU_DEP_1)
	v_add3_u32 v2, v10, v1, 0x7fff
                                        ; implicit-def: $vgpr10
; %bb.857:
	s_and_not1_saveexec_b32 s0, s0
; %bb.858:
	v_and_b32_e32 v1, 0xffff, v10
	v_or_b32_e32 v2, 0x10000, v10
	s_delay_alu instid0(VALU_DEP_2) | instskip(NEXT) | instid1(VALU_DEP_2)
	v_cmp_eq_u32_e32 vcc_lo, 0, v1
	v_cndmask_b32_e32 v2, v2, v10, vcc_lo
; %bb.859:
	s_or_b32 exec_lo, exec_lo, s0
	v_mul_lo_u32 v0, v0, s21
	s_ashr_i32 s0, s3, 31
	v_add_co_u32 v3, s1, s3, v45
	s_delay_alu instid0(VALU_DEP_1) | instskip(SKIP_2) | instid1(VALU_DEP_4)
	v_add_co_ci_u32_e64 v4, null, s0, 0, s1
	v_and_b32_e32 v5, 0xffff0000, v2
	s_mov_b32 s0, 0
	v_ashrrev_i32_e32 v1, 31, v0
	s_delay_alu instid0(VALU_DEP_3) | instskip(NEXT) | instid1(VALU_DEP_2)
	v_lshlrev_b64 v[3:4], 1, v[3:4]
	v_lshlrev_b64 v[0:1], 1, v[0:1]
	s_delay_alu instid0(VALU_DEP_1) | instskip(NEXT) | instid1(VALU_DEP_2)
	v_add_co_u32 v0, vcc_lo, s28, v0
	v_add_co_ci_u32_e32 v1, vcc_lo, s29, v1, vcc_lo
	s_delay_alu instid0(VALU_DEP_2) | instskip(NEXT) | instid1(VALU_DEP_2)
	v_add_co_u32 v0, vcc_lo, v0, v3
	v_add_co_ci_u32_e32 v1, vcc_lo, v1, v4, vcc_lo
	v_and_b32_e32 v4, 0xffff0000, v9
	global_load_b32 v3, v[0:1], off offset:96
	s_branch .LBB13_861
.LBB13_860:                             ;   in Loop: Header=BB13_861 Depth=1
	s_or_b32 exec_lo, exec_lo, s1
	v_lshrrev_b32_e32 v2, 16, v2
	s_delay_alu instid0(VALU_DEP_1)
	v_and_or_b32 v2, 0xffff0000, v7, v2
	global_atomic_cmpswap_b32 v2, v[0:1], v[2:3], off offset:96 glc
	s_waitcnt vmcnt(0)
	v_cmp_eq_u32_e32 vcc_lo, v2, v3
	v_mov_b32_e32 v3, v2
	s_or_b32 s0, vcc_lo, s0
	s_delay_alu instid0(SALU_CYCLE_1)
	s_and_not1_b32 exec_lo, exec_lo, s0
	s_cbranch_execz .LBB13_869
.LBB13_861:                             ; =>This Inner Loop Header: Depth=1
	s_waitcnt vmcnt(0)
	v_lshlrev_b32_e32 v2, 16, v3
	s_delay_alu instid0(VALU_DEP_1) | instskip(NEXT) | instid1(VALU_DEP_1)
	v_add_f32_e32 v6, v4, v2
	v_and_b32_e32 v2, 0x7f800000, v6
	s_delay_alu instid0(VALU_DEP_1) | instskip(SKIP_1) | instid1(SALU_CYCLE_1)
	v_cmp_ne_u32_e32 vcc_lo, 0x7f800000, v2
                                        ; implicit-def: $vgpr2
	s_and_saveexec_b32 s1, vcc_lo
	s_xor_b32 s1, exec_lo, s1
; %bb.862:                              ;   in Loop: Header=BB13_861 Depth=1
	v_bfe_u32 v2, v6, 16, 1
	s_delay_alu instid0(VALU_DEP_1)
	v_add3_u32 v2, v6, v2, 0x7fff
                                        ; implicit-def: $vgpr6
; %bb.863:                              ;   in Loop: Header=BB13_861 Depth=1
	s_and_not1_saveexec_b32 s1, s1
; %bb.864:                              ;   in Loop: Header=BB13_861 Depth=1
	v_and_b32_e32 v2, 0xffff, v6
	v_or_b32_e32 v7, 0x10000, v6
	s_delay_alu instid0(VALU_DEP_2) | instskip(NEXT) | instid1(VALU_DEP_2)
	v_cmp_eq_u32_e32 vcc_lo, 0, v2
	v_cndmask_b32_e32 v2, v7, v6, vcc_lo
; %bb.865:                              ;   in Loop: Header=BB13_861 Depth=1
	s_or_b32 exec_lo, exec_lo, s1
	v_and_b32_e32 v6, 0xffff0000, v3
	s_delay_alu instid0(VALU_DEP_1) | instskip(NEXT) | instid1(VALU_DEP_1)
	v_add_f32_e32 v6, v5, v6
	v_and_b32_e32 v7, 0x7f800000, v6
	s_delay_alu instid0(VALU_DEP_1) | instskip(SKIP_1) | instid1(SALU_CYCLE_1)
	v_cmp_ne_u32_e32 vcc_lo, 0x7f800000, v7
                                        ; implicit-def: $vgpr7
	s_and_saveexec_b32 s1, vcc_lo
	s_xor_b32 s1, exec_lo, s1
; %bb.866:                              ;   in Loop: Header=BB13_861 Depth=1
	v_bfe_u32 v7, v6, 16, 1
	s_delay_alu instid0(VALU_DEP_1)
	v_add3_u32 v7, v6, v7, 0x7fff
                                        ; implicit-def: $vgpr6
; %bb.867:                              ;   in Loop: Header=BB13_861 Depth=1
	s_and_not1_saveexec_b32 s1, s1
	s_cbranch_execz .LBB13_860
; %bb.868:                              ;   in Loop: Header=BB13_861 Depth=1
	v_and_b32_e32 v7, 0xffff, v6
	v_or_b32_e32 v8, 0x10000, v6
	s_delay_alu instid0(VALU_DEP_2) | instskip(NEXT) | instid1(VALU_DEP_2)
	v_cmp_eq_u32_e32 vcc_lo, 0, v7
	v_cndmask_b32_e32 v7, v8, v6, vcc_lo
	s_branch .LBB13_860
.LBB13_869:
	s_nop 0
	s_sendmsg sendmsg(MSG_DEALLOC_VGPRS)
	s_endpgm
	.section	.rodata,"a",@progbits
	.p2align	6, 0x0
	.amdhsa_kernel _ZN4vllm15gptq_rdna3_wmma28gemm_q4_wmma_kernel_64x64_4wI14__hip_bfloat16EEvPKT_PKjS7_S5_PS3_iiiiiPKi
		.amdhsa_group_segment_fixed_size 4096
		.amdhsa_private_segment_fixed_size 0
		.amdhsa_kernarg_size 328
		.amdhsa_user_sgpr_count 13
		.amdhsa_user_sgpr_dispatch_ptr 0
		.amdhsa_user_sgpr_queue_ptr 0
		.amdhsa_user_sgpr_kernarg_segment_ptr 1
		.amdhsa_user_sgpr_dispatch_id 0
		.amdhsa_user_sgpr_private_segment_size 0
		.amdhsa_wavefront_size32 1
		.amdhsa_uses_dynamic_stack 0
		.amdhsa_enable_private_segment 0
		.amdhsa_system_sgpr_workgroup_id_x 1
		.amdhsa_system_sgpr_workgroup_id_y 1
		.amdhsa_system_sgpr_workgroup_id_z 1
		.amdhsa_system_sgpr_workgroup_info 0
		.amdhsa_system_vgpr_workitem_id 0
		.amdhsa_next_free_vgpr 113
		.amdhsa_next_free_sgpr 50
		.amdhsa_reserve_vcc 1
		.amdhsa_float_round_mode_32 0
		.amdhsa_float_round_mode_16_64 0
		.amdhsa_float_denorm_mode_32 3
		.amdhsa_float_denorm_mode_16_64 3
		.amdhsa_dx10_clamp 1
		.amdhsa_ieee_mode 1
		.amdhsa_fp16_overflow 0
		.amdhsa_workgroup_processor_mode 1
		.amdhsa_memory_ordered 1
		.amdhsa_forward_progress 0
		.amdhsa_shared_vgpr_count 0
		.amdhsa_exception_fp_ieee_invalid_op 0
		.amdhsa_exception_fp_denorm_src 0
		.amdhsa_exception_fp_ieee_div_zero 0
		.amdhsa_exception_fp_ieee_overflow 0
		.amdhsa_exception_fp_ieee_underflow 0
		.amdhsa_exception_fp_ieee_inexact 0
		.amdhsa_exception_int_div_zero 0
	.end_amdhsa_kernel
	.section	.text._ZN4vllm15gptq_rdna3_wmma28gemm_q4_wmma_kernel_64x64_4wI14__hip_bfloat16EEvPKT_PKjS7_S5_PS3_iiiiiPKi,"axG",@progbits,_ZN4vllm15gptq_rdna3_wmma28gemm_q4_wmma_kernel_64x64_4wI14__hip_bfloat16EEvPKT_PKjS7_S5_PS3_iiiiiPKi,comdat
.Lfunc_end13:
	.size	_ZN4vllm15gptq_rdna3_wmma28gemm_q4_wmma_kernel_64x64_4wI14__hip_bfloat16EEvPKT_PKjS7_S5_PS3_iiiiiPKi, .Lfunc_end13-_ZN4vllm15gptq_rdna3_wmma28gemm_q4_wmma_kernel_64x64_4wI14__hip_bfloat16EEvPKT_PKjS7_S5_PS3_iiiiiPKi
                                        ; -- End function
	.section	.AMDGPU.csdata,"",@progbits
; Kernel info:
; codeLenInByte = 33796
; NumSgprs: 52
; NumVgprs: 113
; ScratchSize: 0
; MemoryBound: 1
; FloatMode: 240
; IeeeMode: 1
; LDSByteSize: 4096 bytes/workgroup (compile time only)
; SGPRBlocks: 6
; VGPRBlocks: 14
; NumSGPRsForWavesPerEU: 52
; NumVGPRsForWavesPerEU: 113
; Occupancy: 12
; WaveLimiterHint : 1
; COMPUTE_PGM_RSRC2:SCRATCH_EN: 0
; COMPUTE_PGM_RSRC2:USER_SGPR: 13
; COMPUTE_PGM_RSRC2:TRAP_HANDLER: 0
; COMPUTE_PGM_RSRC2:TGID_X_EN: 1
; COMPUTE_PGM_RSRC2:TGID_Y_EN: 1
; COMPUTE_PGM_RSRC2:TGID_Z_EN: 1
; COMPUTE_PGM_RSRC2:TIDIG_COMP_CNT: 0
	.text
	.p2alignl 7, 3214868480
	.fill 96, 4, 3214868480
	.type	__hip_cuid_8165d9c49c861a92,@object ; @__hip_cuid_8165d9c49c861a92
	.section	.bss,"aw",@nobits
	.globl	__hip_cuid_8165d9c49c861a92
__hip_cuid_8165d9c49c861a92:
	.byte	0                               ; 0x0
	.size	__hip_cuid_8165d9c49c861a92, 1

	.ident	"AMD clang version 19.0.0git (https://github.com/RadeonOpenCompute/llvm-project roc-6.4.0 25133 c7fe45cf4b819c5991fe208aaa96edf142730f1d)"
	.section	".note.GNU-stack","",@progbits
	.addrsig
	.addrsig_sym __hip_cuid_8165d9c49c861a92
	.amdgpu_metadata
---
amdhsa.kernels:
  - .args:
      - .actual_access:  read_only
        .address_space:  global
        .offset:         0
        .size:           8
        .value_kind:     global_buffer
      - .actual_access:  read_only
        .address_space:  global
        .offset:         8
        .size:           8
        .value_kind:     global_buffer
      - .actual_access:  read_only
        .address_space:  global
        .offset:         16
        .size:           8
        .value_kind:     global_buffer
      - .actual_access:  read_only
        .address_space:  global
        .offset:         24
        .size:           8
        .value_kind:     global_buffer
      - .address_space:  global
        .offset:         32
        .size:           8
        .value_kind:     global_buffer
      - .offset:         40
        .size:           4
        .value_kind:     by_value
      - .offset:         44
        .size:           4
        .value_kind:     by_value
      - .offset:         48
        .size:           4
        .value_kind:     by_value
      - .offset:         52
        .size:           4
        .value_kind:     by_value
      - .offset:         56
        .size:           4
        .value_kind:     by_value
      - .actual_access:  read_only
        .address_space:  global
        .offset:         64
        .size:           8
        .value_kind:     global_buffer
      - .offset:         72
        .size:           4
        .value_kind:     hidden_block_count_x
      - .offset:         76
        .size:           4
        .value_kind:     hidden_block_count_y
      - .offset:         80
        .size:           4
        .value_kind:     hidden_block_count_z
      - .offset:         84
        .size:           2
        .value_kind:     hidden_group_size_x
      - .offset:         86
        .size:           2
        .value_kind:     hidden_group_size_y
      - .offset:         88
        .size:           2
        .value_kind:     hidden_group_size_z
      - .offset:         90
        .size:           2
        .value_kind:     hidden_remainder_x
      - .offset:         92
        .size:           2
        .value_kind:     hidden_remainder_y
      - .offset:         94
        .size:           2
        .value_kind:     hidden_remainder_z
      - .offset:         112
        .size:           8
        .value_kind:     hidden_global_offset_x
      - .offset:         120
        .size:           8
        .value_kind:     hidden_global_offset_y
      - .offset:         128
        .size:           8
        .value_kind:     hidden_global_offset_z
      - .offset:         136
        .size:           2
        .value_kind:     hidden_grid_dims
    .group_segment_fixed_size: 512
    .kernarg_segment_align: 8
    .kernarg_segment_size: 328
    .language:       OpenCL C
    .language_version:
      - 2
      - 0
    .max_flat_workgroup_size: 1024
    .name:           _ZN4vllm15gptq_rdna3_wmma28gemm_q4_wmma_kernel_16x16_1wI6__halfEEvPKT_PKjS7_S5_PS3_iiiiiPKi
    .private_segment_fixed_size: 0
    .sgpr_count:     56
    .sgpr_spill_count: 0
    .symbol:         _ZN4vllm15gptq_rdna3_wmma28gemm_q4_wmma_kernel_16x16_1wI6__halfEEvPKT_PKjS7_S5_PS3_iiiiiPKi.kd
    .uniform_work_group_size: 1
    .uses_dynamic_stack: false
    .vgpr_count:     43
    .vgpr_spill_count: 0
    .wavefront_size: 32
    .workgroup_processor_mode: 1
  - .args:
      - .actual_access:  read_only
        .address_space:  global
        .offset:         0
        .size:           8
        .value_kind:     global_buffer
      - .actual_access:  read_only
        .address_space:  global
        .offset:         8
        .size:           8
        .value_kind:     global_buffer
      - .actual_access:  read_only
        .address_space:  global
        .offset:         16
        .size:           8
        .value_kind:     global_buffer
      - .actual_access:  read_only
        .address_space:  global
        .offset:         24
        .size:           8
        .value_kind:     global_buffer
      - .address_space:  global
        .offset:         32
        .size:           8
        .value_kind:     global_buffer
      - .offset:         40
        .size:           4
        .value_kind:     by_value
      - .offset:         44
        .size:           4
        .value_kind:     by_value
      - .offset:         48
        .size:           4
        .value_kind:     by_value
      - .offset:         52
        .size:           4
        .value_kind:     by_value
      - .offset:         56
        .size:           4
        .value_kind:     by_value
      - .actual_access:  read_only
        .address_space:  global
        .offset:         64
        .size:           8
        .value_kind:     global_buffer
      - .offset:         72
        .size:           4
        .value_kind:     hidden_block_count_x
      - .offset:         76
        .size:           4
        .value_kind:     hidden_block_count_y
      - .offset:         80
        .size:           4
        .value_kind:     hidden_block_count_z
      - .offset:         84
        .size:           2
        .value_kind:     hidden_group_size_x
      - .offset:         86
        .size:           2
        .value_kind:     hidden_group_size_y
      - .offset:         88
        .size:           2
        .value_kind:     hidden_group_size_z
      - .offset:         90
        .size:           2
        .value_kind:     hidden_remainder_x
      - .offset:         92
        .size:           2
        .value_kind:     hidden_remainder_y
      - .offset:         94
        .size:           2
        .value_kind:     hidden_remainder_z
      - .offset:         112
        .size:           8
        .value_kind:     hidden_global_offset_x
      - .offset:         120
        .size:           8
        .value_kind:     hidden_global_offset_y
      - .offset:         128
        .size:           8
        .value_kind:     hidden_global_offset_z
      - .offset:         136
        .size:           2
        .value_kind:     hidden_grid_dims
    .group_segment_fixed_size: 1024
    .kernarg_segment_align: 8
    .kernarg_segment_size: 328
    .language:       OpenCL C
    .language_version:
      - 2
      - 0
    .max_flat_workgroup_size: 1024
    .name:           _ZN4vllm15gptq_rdna3_wmma28gemm_q4_wmma_kernel_32x16_2wI6__halfEEvPKT_PKjS7_S5_PS3_iiiiiPKi
    .private_segment_fixed_size: 0
    .sgpr_count:     56
    .sgpr_spill_count: 0
    .symbol:         _ZN4vllm15gptq_rdna3_wmma28gemm_q4_wmma_kernel_32x16_2wI6__halfEEvPKT_PKjS7_S5_PS3_iiiiiPKi.kd
    .uniform_work_group_size: 1
    .uses_dynamic_stack: false
    .vgpr_count:     44
    .vgpr_spill_count: 0
    .wavefront_size: 32
    .workgroup_processor_mode: 1
  - .args:
      - .actual_access:  read_only
        .address_space:  global
        .offset:         0
        .size:           8
        .value_kind:     global_buffer
      - .actual_access:  read_only
        .address_space:  global
        .offset:         8
        .size:           8
        .value_kind:     global_buffer
      - .actual_access:  read_only
        .address_space:  global
        .offset:         16
        .size:           8
        .value_kind:     global_buffer
      - .actual_access:  read_only
        .address_space:  global
        .offset:         24
        .size:           8
        .value_kind:     global_buffer
      - .address_space:  global
        .offset:         32
        .size:           8
        .value_kind:     global_buffer
      - .offset:         40
        .size:           4
        .value_kind:     by_value
      - .offset:         44
        .size:           4
        .value_kind:     by_value
      - .offset:         48
        .size:           4
        .value_kind:     by_value
      - .offset:         52
        .size:           4
        .value_kind:     by_value
      - .offset:         56
        .size:           4
        .value_kind:     by_value
      - .actual_access:  read_only
        .address_space:  global
        .offset:         64
        .size:           8
        .value_kind:     global_buffer
      - .offset:         72
        .size:           4
        .value_kind:     hidden_block_count_x
      - .offset:         76
        .size:           4
        .value_kind:     hidden_block_count_y
      - .offset:         80
        .size:           4
        .value_kind:     hidden_block_count_z
      - .offset:         84
        .size:           2
        .value_kind:     hidden_group_size_x
      - .offset:         86
        .size:           2
        .value_kind:     hidden_group_size_y
      - .offset:         88
        .size:           2
        .value_kind:     hidden_group_size_z
      - .offset:         90
        .size:           2
        .value_kind:     hidden_remainder_x
      - .offset:         92
        .size:           2
        .value_kind:     hidden_remainder_y
      - .offset:         94
        .size:           2
        .value_kind:     hidden_remainder_z
      - .offset:         112
        .size:           8
        .value_kind:     hidden_global_offset_x
      - .offset:         120
        .size:           8
        .value_kind:     hidden_global_offset_y
      - .offset:         128
        .size:           8
        .value_kind:     hidden_global_offset_z
      - .offset:         136
        .size:           2
        .value_kind:     hidden_grid_dims
    .group_segment_fixed_size: 1024
    .kernarg_segment_align: 8
    .kernarg_segment_size: 328
    .language:       OpenCL C
    .language_version:
      - 2
      - 0
    .max_flat_workgroup_size: 1024
    .name:           _ZN4vllm15gptq_rdna3_wmma28gemm_q4_wmma_kernel_64x16_4wI6__halfEEvPKT_PKjS7_S5_PS3_iiiiiPKi
    .private_segment_fixed_size: 0
    .sgpr_count:     56
    .sgpr_spill_count: 0
    .symbol:         _ZN4vllm15gptq_rdna3_wmma28gemm_q4_wmma_kernel_64x16_4wI6__halfEEvPKT_PKjS7_S5_PS3_iiiiiPKi.kd
    .uniform_work_group_size: 1
    .uses_dynamic_stack: false
    .vgpr_count:     44
    .vgpr_spill_count: 0
    .wavefront_size: 32
    .workgroup_processor_mode: 1
  - .args:
      - .actual_access:  read_only
        .address_space:  global
        .offset:         0
        .size:           8
        .value_kind:     global_buffer
      - .actual_access:  read_only
        .address_space:  global
        .offset:         8
        .size:           8
        .value_kind:     global_buffer
      - .actual_access:  read_only
        .address_space:  global
        .offset:         16
        .size:           8
        .value_kind:     global_buffer
      - .actual_access:  read_only
        .address_space:  global
        .offset:         24
        .size:           8
        .value_kind:     global_buffer
      - .address_space:  global
        .offset:         32
        .size:           8
        .value_kind:     global_buffer
      - .offset:         40
        .size:           4
        .value_kind:     by_value
      - .offset:         44
        .size:           4
        .value_kind:     by_value
      - .offset:         48
        .size:           4
        .value_kind:     by_value
      - .offset:         52
        .size:           4
        .value_kind:     by_value
      - .offset:         56
        .size:           4
        .value_kind:     by_value
      - .actual_access:  read_only
        .address_space:  global
        .offset:         64
        .size:           8
        .value_kind:     global_buffer
      - .offset:         72
        .size:           4
        .value_kind:     hidden_block_count_x
      - .offset:         76
        .size:           4
        .value_kind:     hidden_block_count_y
      - .offset:         80
        .size:           4
        .value_kind:     hidden_block_count_z
      - .offset:         84
        .size:           2
        .value_kind:     hidden_group_size_x
      - .offset:         86
        .size:           2
        .value_kind:     hidden_group_size_y
      - .offset:         88
        .size:           2
        .value_kind:     hidden_group_size_z
      - .offset:         90
        .size:           2
        .value_kind:     hidden_remainder_x
      - .offset:         92
        .size:           2
        .value_kind:     hidden_remainder_y
      - .offset:         94
        .size:           2
        .value_kind:     hidden_remainder_z
      - .offset:         112
        .size:           8
        .value_kind:     hidden_global_offset_x
      - .offset:         120
        .size:           8
        .value_kind:     hidden_global_offset_y
      - .offset:         128
        .size:           8
        .value_kind:     hidden_global_offset_z
      - .offset:         136
        .size:           2
        .value_kind:     hidden_grid_dims
    .group_segment_fixed_size: 2048
    .kernarg_segment_align: 8
    .kernarg_segment_size: 328
    .language:       OpenCL C
    .language_version:
      - 2
      - 0
    .max_flat_workgroup_size: 1024
    .name:           _ZN4vllm15gptq_rdna3_wmma28gemm_q4_wmma_kernel_64x32_4wI6__halfEEvPKT_PKjS7_S5_PS3_iiiiiPKi
    .private_segment_fixed_size: 0
    .sgpr_count:     58
    .sgpr_spill_count: 0
    .symbol:         _ZN4vllm15gptq_rdna3_wmma28gemm_q4_wmma_kernel_64x32_4wI6__halfEEvPKT_PKjS7_S5_PS3_iiiiiPKi.kd
    .uniform_work_group_size: 1
    .uses_dynamic_stack: false
    .vgpr_count:     54
    .vgpr_spill_count: 0
    .wavefront_size: 32
    .workgroup_processor_mode: 1
  - .args:
      - .actual_access:  read_only
        .address_space:  global
        .offset:         0
        .size:           8
        .value_kind:     global_buffer
      - .actual_access:  read_only
        .address_space:  global
        .offset:         8
        .size:           8
        .value_kind:     global_buffer
      - .actual_access:  read_only
        .address_space:  global
        .offset:         16
        .size:           8
        .value_kind:     global_buffer
      - .actual_access:  read_only
        .address_space:  global
        .offset:         24
        .size:           8
        .value_kind:     global_buffer
      - .address_space:  global
        .offset:         32
        .size:           8
        .value_kind:     global_buffer
      - .offset:         40
        .size:           4
        .value_kind:     by_value
      - .offset:         44
        .size:           4
        .value_kind:     by_value
      - .offset:         48
        .size:           4
        .value_kind:     by_value
      - .offset:         52
        .size:           4
        .value_kind:     by_value
      - .offset:         56
        .size:           4
        .value_kind:     by_value
      - .actual_access:  read_only
        .address_space:  global
        .offset:         64
        .size:           8
        .value_kind:     global_buffer
      - .offset:         72
        .size:           4
        .value_kind:     hidden_block_count_x
      - .offset:         76
        .size:           4
        .value_kind:     hidden_block_count_y
      - .offset:         80
        .size:           4
        .value_kind:     hidden_block_count_z
      - .offset:         84
        .size:           2
        .value_kind:     hidden_group_size_x
      - .offset:         86
        .size:           2
        .value_kind:     hidden_group_size_y
      - .offset:         88
        .size:           2
        .value_kind:     hidden_group_size_z
      - .offset:         90
        .size:           2
        .value_kind:     hidden_remainder_x
      - .offset:         92
        .size:           2
        .value_kind:     hidden_remainder_y
      - .offset:         94
        .size:           2
        .value_kind:     hidden_remainder_z
      - .offset:         112
        .size:           8
        .value_kind:     hidden_global_offset_x
      - .offset:         120
        .size:           8
        .value_kind:     hidden_global_offset_y
      - .offset:         128
        .size:           8
        .value_kind:     hidden_global_offset_z
      - .offset:         136
        .size:           2
        .value_kind:     hidden_grid_dims
    .group_segment_fixed_size: 8704
    .kernarg_segment_align: 8
    .kernarg_segment_size: 328
    .language:       OpenCL C
    .language_version:
      - 2
      - 0
    .max_flat_workgroup_size: 1024
    .name:           _ZN4vllm15gptq_rdna3_wmma30gemm_q4_wmma_kernel_128x64_k32I6__halfEEvPKT_PKjS7_S5_PS3_iiiiiPKi
    .private_segment_fixed_size: 0
    .sgpr_count:     31
    .sgpr_spill_count: 0
    .symbol:         _ZN4vllm15gptq_rdna3_wmma30gemm_q4_wmma_kernel_128x64_k32I6__halfEEvPKT_PKjS7_S5_PS3_iiiiiPKi.kd
    .uniform_work_group_size: 1
    .uses_dynamic_stack: false
    .vgpr_count:     127
    .vgpr_spill_count: 0
    .wavefront_size: 32
    .workgroup_processor_mode: 1
  - .args:
      - .actual_access:  read_only
        .address_space:  global
        .offset:         0
        .size:           8
        .value_kind:     global_buffer
      - .actual_access:  read_only
        .address_space:  global
        .offset:         8
        .size:           8
        .value_kind:     global_buffer
      - .actual_access:  read_only
        .address_space:  global
        .offset:         16
        .size:           8
        .value_kind:     global_buffer
      - .actual_access:  read_only
        .address_space:  global
        .offset:         24
        .size:           8
        .value_kind:     global_buffer
      - .address_space:  global
        .offset:         32
        .size:           8
        .value_kind:     global_buffer
      - .offset:         40
        .size:           4
        .value_kind:     by_value
      - .offset:         44
        .size:           4
        .value_kind:     by_value
      - .offset:         48
        .size:           4
        .value_kind:     by_value
      - .offset:         52
        .size:           4
        .value_kind:     by_value
      - .offset:         56
        .size:           4
        .value_kind:     by_value
      - .actual_access:  read_only
        .address_space:  global
        .offset:         64
        .size:           8
        .value_kind:     global_buffer
      - .offset:         72
        .size:           4
        .value_kind:     hidden_block_count_x
      - .offset:         76
        .size:           4
        .value_kind:     hidden_block_count_y
      - .offset:         80
        .size:           4
        .value_kind:     hidden_block_count_z
      - .offset:         84
        .size:           2
        .value_kind:     hidden_group_size_x
      - .offset:         86
        .size:           2
        .value_kind:     hidden_group_size_y
      - .offset:         88
        .size:           2
        .value_kind:     hidden_group_size_z
      - .offset:         90
        .size:           2
        .value_kind:     hidden_remainder_x
      - .offset:         92
        .size:           2
        .value_kind:     hidden_remainder_y
      - .offset:         94
        .size:           2
        .value_kind:     hidden_remainder_z
      - .offset:         112
        .size:           8
        .value_kind:     hidden_global_offset_x
      - .offset:         120
        .size:           8
        .value_kind:     hidden_global_offset_y
      - .offset:         128
        .size:           8
        .value_kind:     hidden_global_offset_z
      - .offset:         136
        .size:           2
        .value_kind:     hidden_grid_dims
    .group_segment_fixed_size: 4096
    .kernarg_segment_align: 8
    .kernarg_segment_size: 328
    .language:       OpenCL C
    .language_version:
      - 2
      - 0
    .max_flat_workgroup_size: 1024
    .name:           _ZN4vllm15gptq_rdna3_wmma30gemm_q4_wmma_kernel_128x64_k16I6__halfEEvPKT_PKjS7_S5_PS3_iiiiiPKi
    .private_segment_fixed_size: 0
    .sgpr_count:     31
    .sgpr_spill_count: 0
    .symbol:         _ZN4vllm15gptq_rdna3_wmma30gemm_q4_wmma_kernel_128x64_k16I6__halfEEvPKT_PKjS7_S5_PS3_iiiiiPKi.kd
    .uniform_work_group_size: 1
    .uses_dynamic_stack: false
    .vgpr_count:     86
    .vgpr_spill_count: 0
    .wavefront_size: 32
    .workgroup_processor_mode: 1
  - .args:
      - .actual_access:  read_only
        .address_space:  global
        .offset:         0
        .size:           8
        .value_kind:     global_buffer
      - .actual_access:  read_only
        .address_space:  global
        .offset:         8
        .size:           8
        .value_kind:     global_buffer
      - .actual_access:  read_only
        .address_space:  global
        .offset:         16
        .size:           8
        .value_kind:     global_buffer
      - .actual_access:  read_only
        .address_space:  global
        .offset:         24
        .size:           8
        .value_kind:     global_buffer
      - .address_space:  global
        .offset:         32
        .size:           8
        .value_kind:     global_buffer
      - .offset:         40
        .size:           4
        .value_kind:     by_value
      - .offset:         44
        .size:           4
        .value_kind:     by_value
      - .offset:         48
        .size:           4
        .value_kind:     by_value
      - .offset:         52
        .size:           4
        .value_kind:     by_value
      - .offset:         56
        .size:           4
        .value_kind:     by_value
      - .actual_access:  read_only
        .address_space:  global
        .offset:         64
        .size:           8
        .value_kind:     global_buffer
      - .offset:         72
        .size:           4
        .value_kind:     hidden_block_count_x
      - .offset:         76
        .size:           4
        .value_kind:     hidden_block_count_y
      - .offset:         80
        .size:           4
        .value_kind:     hidden_block_count_z
      - .offset:         84
        .size:           2
        .value_kind:     hidden_group_size_x
      - .offset:         86
        .size:           2
        .value_kind:     hidden_group_size_y
      - .offset:         88
        .size:           2
        .value_kind:     hidden_group_size_z
      - .offset:         90
        .size:           2
        .value_kind:     hidden_remainder_x
      - .offset:         92
        .size:           2
        .value_kind:     hidden_remainder_y
      - .offset:         94
        .size:           2
        .value_kind:     hidden_remainder_z
      - .offset:         112
        .size:           8
        .value_kind:     hidden_global_offset_x
      - .offset:         120
        .size:           8
        .value_kind:     hidden_global_offset_y
      - .offset:         128
        .size:           8
        .value_kind:     hidden_global_offset_z
      - .offset:         136
        .size:           2
        .value_kind:     hidden_grid_dims
    .group_segment_fixed_size: 4096
    .kernarg_segment_align: 8
    .kernarg_segment_size: 328
    .language:       OpenCL C
    .language_version:
      - 2
      - 0
    .max_flat_workgroup_size: 1024
    .name:           _ZN4vllm15gptq_rdna3_wmma28gemm_q4_wmma_kernel_64x64_4wI6__halfEEvPKT_PKjS7_S5_PS3_iiiiiPKi
    .private_segment_fixed_size: 0
    .sgpr_count:     56
    .sgpr_spill_count: 0
    .symbol:         _ZN4vllm15gptq_rdna3_wmma28gemm_q4_wmma_kernel_64x64_4wI6__halfEEvPKT_PKjS7_S5_PS3_iiiiiPKi.kd
    .uniform_work_group_size: 1
    .uses_dynamic_stack: false
    .vgpr_count:     86
    .vgpr_spill_count: 0
    .wavefront_size: 32
    .workgroup_processor_mode: 1
  - .args:
      - .actual_access:  read_only
        .address_space:  global
        .offset:         0
        .size:           8
        .value_kind:     global_buffer
      - .actual_access:  read_only
        .address_space:  global
        .offset:         8
        .size:           8
        .value_kind:     global_buffer
      - .actual_access:  read_only
        .address_space:  global
        .offset:         16
        .size:           8
        .value_kind:     global_buffer
      - .actual_access:  read_only
        .address_space:  global
        .offset:         24
        .size:           8
        .value_kind:     global_buffer
      - .address_space:  global
        .offset:         32
        .size:           8
        .value_kind:     global_buffer
      - .offset:         40
        .size:           4
        .value_kind:     by_value
      - .offset:         44
        .size:           4
        .value_kind:     by_value
      - .offset:         48
        .size:           4
        .value_kind:     by_value
      - .offset:         52
        .size:           4
        .value_kind:     by_value
      - .offset:         56
        .size:           4
        .value_kind:     by_value
      - .actual_access:  read_only
        .address_space:  global
        .offset:         64
        .size:           8
        .value_kind:     global_buffer
      - .offset:         72
        .size:           4
        .value_kind:     hidden_block_count_x
      - .offset:         76
        .size:           4
        .value_kind:     hidden_block_count_y
      - .offset:         80
        .size:           4
        .value_kind:     hidden_block_count_z
      - .offset:         84
        .size:           2
        .value_kind:     hidden_group_size_x
      - .offset:         86
        .size:           2
        .value_kind:     hidden_group_size_y
      - .offset:         88
        .size:           2
        .value_kind:     hidden_group_size_z
      - .offset:         90
        .size:           2
        .value_kind:     hidden_remainder_x
      - .offset:         92
        .size:           2
        .value_kind:     hidden_remainder_y
      - .offset:         94
        .size:           2
        .value_kind:     hidden_remainder_z
      - .offset:         112
        .size:           8
        .value_kind:     hidden_global_offset_x
      - .offset:         120
        .size:           8
        .value_kind:     hidden_global_offset_y
      - .offset:         128
        .size:           8
        .value_kind:     hidden_global_offset_z
      - .offset:         136
        .size:           2
        .value_kind:     hidden_grid_dims
    .group_segment_fixed_size: 512
    .kernarg_segment_align: 8
    .kernarg_segment_size: 328
    .language:       OpenCL C
    .language_version:
      - 2
      - 0
    .max_flat_workgroup_size: 1024
    .name:           _ZN4vllm15gptq_rdna3_wmma28gemm_q4_wmma_kernel_16x16_1wI14__hip_bfloat16EEvPKT_PKjS7_S5_PS3_iiiiiPKi
    .private_segment_fixed_size: 0
    .sgpr_count:     52
    .sgpr_spill_count: 0
    .symbol:         _ZN4vllm15gptq_rdna3_wmma28gemm_q4_wmma_kernel_16x16_1wI14__hip_bfloat16EEvPKT_PKjS7_S5_PS3_iiiiiPKi.kd
    .uniform_work_group_size: 1
    .uses_dynamic_stack: false
    .vgpr_count:     45
    .vgpr_spill_count: 0
    .wavefront_size: 32
    .workgroup_processor_mode: 1
  - .args:
      - .actual_access:  read_only
        .address_space:  global
        .offset:         0
        .size:           8
        .value_kind:     global_buffer
      - .actual_access:  read_only
        .address_space:  global
        .offset:         8
        .size:           8
        .value_kind:     global_buffer
      - .actual_access:  read_only
        .address_space:  global
        .offset:         16
        .size:           8
        .value_kind:     global_buffer
      - .actual_access:  read_only
        .address_space:  global
        .offset:         24
        .size:           8
        .value_kind:     global_buffer
      - .address_space:  global
        .offset:         32
        .size:           8
        .value_kind:     global_buffer
      - .offset:         40
        .size:           4
        .value_kind:     by_value
      - .offset:         44
        .size:           4
        .value_kind:     by_value
      - .offset:         48
        .size:           4
        .value_kind:     by_value
      - .offset:         52
        .size:           4
        .value_kind:     by_value
      - .offset:         56
        .size:           4
        .value_kind:     by_value
      - .actual_access:  read_only
        .address_space:  global
        .offset:         64
        .size:           8
        .value_kind:     global_buffer
      - .offset:         72
        .size:           4
        .value_kind:     hidden_block_count_x
      - .offset:         76
        .size:           4
        .value_kind:     hidden_block_count_y
      - .offset:         80
        .size:           4
        .value_kind:     hidden_block_count_z
      - .offset:         84
        .size:           2
        .value_kind:     hidden_group_size_x
      - .offset:         86
        .size:           2
        .value_kind:     hidden_group_size_y
      - .offset:         88
        .size:           2
        .value_kind:     hidden_group_size_z
      - .offset:         90
        .size:           2
        .value_kind:     hidden_remainder_x
      - .offset:         92
        .size:           2
        .value_kind:     hidden_remainder_y
      - .offset:         94
        .size:           2
        .value_kind:     hidden_remainder_z
      - .offset:         112
        .size:           8
        .value_kind:     hidden_global_offset_x
      - .offset:         120
        .size:           8
        .value_kind:     hidden_global_offset_y
      - .offset:         128
        .size:           8
        .value_kind:     hidden_global_offset_z
      - .offset:         136
        .size:           2
        .value_kind:     hidden_grid_dims
    .group_segment_fixed_size: 1024
    .kernarg_segment_align: 8
    .kernarg_segment_size: 328
    .language:       OpenCL C
    .language_version:
      - 2
      - 0
    .max_flat_workgroup_size: 1024
    .name:           _ZN4vllm15gptq_rdna3_wmma28gemm_q4_wmma_kernel_32x16_2wI14__hip_bfloat16EEvPKT_PKjS7_S5_PS3_iiiiiPKi
    .private_segment_fixed_size: 0
    .sgpr_count:     52
    .sgpr_spill_count: 0
    .symbol:         _ZN4vllm15gptq_rdna3_wmma28gemm_q4_wmma_kernel_32x16_2wI14__hip_bfloat16EEvPKT_PKjS7_S5_PS3_iiiiiPKi.kd
    .uniform_work_group_size: 1
    .uses_dynamic_stack: false
    .vgpr_count:     46
    .vgpr_spill_count: 0
    .wavefront_size: 32
    .workgroup_processor_mode: 1
  - .args:
      - .actual_access:  read_only
        .address_space:  global
        .offset:         0
        .size:           8
        .value_kind:     global_buffer
      - .actual_access:  read_only
        .address_space:  global
        .offset:         8
        .size:           8
        .value_kind:     global_buffer
      - .actual_access:  read_only
        .address_space:  global
        .offset:         16
        .size:           8
        .value_kind:     global_buffer
      - .actual_access:  read_only
        .address_space:  global
        .offset:         24
        .size:           8
        .value_kind:     global_buffer
      - .address_space:  global
        .offset:         32
        .size:           8
        .value_kind:     global_buffer
      - .offset:         40
        .size:           4
        .value_kind:     by_value
      - .offset:         44
        .size:           4
        .value_kind:     by_value
      - .offset:         48
        .size:           4
        .value_kind:     by_value
      - .offset:         52
        .size:           4
        .value_kind:     by_value
      - .offset:         56
        .size:           4
        .value_kind:     by_value
      - .actual_access:  read_only
        .address_space:  global
        .offset:         64
        .size:           8
        .value_kind:     global_buffer
      - .offset:         72
        .size:           4
        .value_kind:     hidden_block_count_x
      - .offset:         76
        .size:           4
        .value_kind:     hidden_block_count_y
      - .offset:         80
        .size:           4
        .value_kind:     hidden_block_count_z
      - .offset:         84
        .size:           2
        .value_kind:     hidden_group_size_x
      - .offset:         86
        .size:           2
        .value_kind:     hidden_group_size_y
      - .offset:         88
        .size:           2
        .value_kind:     hidden_group_size_z
      - .offset:         90
        .size:           2
        .value_kind:     hidden_remainder_x
      - .offset:         92
        .size:           2
        .value_kind:     hidden_remainder_y
      - .offset:         94
        .size:           2
        .value_kind:     hidden_remainder_z
      - .offset:         112
        .size:           8
        .value_kind:     hidden_global_offset_x
      - .offset:         120
        .size:           8
        .value_kind:     hidden_global_offset_y
      - .offset:         128
        .size:           8
        .value_kind:     hidden_global_offset_z
      - .offset:         136
        .size:           2
        .value_kind:     hidden_grid_dims
    .group_segment_fixed_size: 1024
    .kernarg_segment_align: 8
    .kernarg_segment_size: 328
    .language:       OpenCL C
    .language_version:
      - 2
      - 0
    .max_flat_workgroup_size: 1024
    .name:           _ZN4vllm15gptq_rdna3_wmma28gemm_q4_wmma_kernel_64x16_4wI14__hip_bfloat16EEvPKT_PKjS7_S5_PS3_iiiiiPKi
    .private_segment_fixed_size: 0
    .sgpr_count:     52
    .sgpr_spill_count: 0
    .symbol:         _ZN4vllm15gptq_rdna3_wmma28gemm_q4_wmma_kernel_64x16_4wI14__hip_bfloat16EEvPKT_PKjS7_S5_PS3_iiiiiPKi.kd
    .uniform_work_group_size: 1
    .uses_dynamic_stack: false
    .vgpr_count:     46
    .vgpr_spill_count: 0
    .wavefront_size: 32
    .workgroup_processor_mode: 1
  - .args:
      - .actual_access:  read_only
        .address_space:  global
        .offset:         0
        .size:           8
        .value_kind:     global_buffer
      - .actual_access:  read_only
        .address_space:  global
        .offset:         8
        .size:           8
        .value_kind:     global_buffer
      - .actual_access:  read_only
        .address_space:  global
        .offset:         16
        .size:           8
        .value_kind:     global_buffer
      - .actual_access:  read_only
        .address_space:  global
        .offset:         24
        .size:           8
        .value_kind:     global_buffer
      - .address_space:  global
        .offset:         32
        .size:           8
        .value_kind:     global_buffer
      - .offset:         40
        .size:           4
        .value_kind:     by_value
      - .offset:         44
        .size:           4
        .value_kind:     by_value
      - .offset:         48
        .size:           4
        .value_kind:     by_value
      - .offset:         52
        .size:           4
        .value_kind:     by_value
      - .offset:         56
        .size:           4
        .value_kind:     by_value
      - .actual_access:  read_only
        .address_space:  global
        .offset:         64
        .size:           8
        .value_kind:     global_buffer
      - .offset:         72
        .size:           4
        .value_kind:     hidden_block_count_x
      - .offset:         76
        .size:           4
        .value_kind:     hidden_block_count_y
      - .offset:         80
        .size:           4
        .value_kind:     hidden_block_count_z
      - .offset:         84
        .size:           2
        .value_kind:     hidden_group_size_x
      - .offset:         86
        .size:           2
        .value_kind:     hidden_group_size_y
      - .offset:         88
        .size:           2
        .value_kind:     hidden_group_size_z
      - .offset:         90
        .size:           2
        .value_kind:     hidden_remainder_x
      - .offset:         92
        .size:           2
        .value_kind:     hidden_remainder_y
      - .offset:         94
        .size:           2
        .value_kind:     hidden_remainder_z
      - .offset:         112
        .size:           8
        .value_kind:     hidden_global_offset_x
      - .offset:         120
        .size:           8
        .value_kind:     hidden_global_offset_y
      - .offset:         128
        .size:           8
        .value_kind:     hidden_global_offset_z
      - .offset:         136
        .size:           2
        .value_kind:     hidden_grid_dims
    .group_segment_fixed_size: 2048
    .kernarg_segment_align: 8
    .kernarg_segment_size: 328
    .language:       OpenCL C
    .language_version:
      - 2
      - 0
    .max_flat_workgroup_size: 1024
    .name:           _ZN4vllm15gptq_rdna3_wmma28gemm_q4_wmma_kernel_64x32_4wI14__hip_bfloat16EEvPKT_PKjS7_S5_PS3_iiiiiPKi
    .private_segment_fixed_size: 0
    .sgpr_count:     54
    .sgpr_spill_count: 0
    .symbol:         _ZN4vllm15gptq_rdna3_wmma28gemm_q4_wmma_kernel_64x32_4wI14__hip_bfloat16EEvPKT_PKjS7_S5_PS3_iiiiiPKi.kd
    .uniform_work_group_size: 1
    .uses_dynamic_stack: false
    .vgpr_count:     70
    .vgpr_spill_count: 0
    .wavefront_size: 32
    .workgroup_processor_mode: 1
  - .args:
      - .actual_access:  read_only
        .address_space:  global
        .offset:         0
        .size:           8
        .value_kind:     global_buffer
      - .actual_access:  read_only
        .address_space:  global
        .offset:         8
        .size:           8
        .value_kind:     global_buffer
      - .actual_access:  read_only
        .address_space:  global
        .offset:         16
        .size:           8
        .value_kind:     global_buffer
      - .actual_access:  read_only
        .address_space:  global
        .offset:         24
        .size:           8
        .value_kind:     global_buffer
      - .address_space:  global
        .offset:         32
        .size:           8
        .value_kind:     global_buffer
      - .offset:         40
        .size:           4
        .value_kind:     by_value
      - .offset:         44
        .size:           4
        .value_kind:     by_value
      - .offset:         48
        .size:           4
        .value_kind:     by_value
      - .offset:         52
        .size:           4
        .value_kind:     by_value
      - .offset:         56
        .size:           4
        .value_kind:     by_value
      - .actual_access:  read_only
        .address_space:  global
        .offset:         64
        .size:           8
        .value_kind:     global_buffer
      - .offset:         72
        .size:           4
        .value_kind:     hidden_block_count_x
      - .offset:         76
        .size:           4
        .value_kind:     hidden_block_count_y
      - .offset:         80
        .size:           4
        .value_kind:     hidden_block_count_z
      - .offset:         84
        .size:           2
        .value_kind:     hidden_group_size_x
      - .offset:         86
        .size:           2
        .value_kind:     hidden_group_size_y
      - .offset:         88
        .size:           2
        .value_kind:     hidden_group_size_z
      - .offset:         90
        .size:           2
        .value_kind:     hidden_remainder_x
      - .offset:         92
        .size:           2
        .value_kind:     hidden_remainder_y
      - .offset:         94
        .size:           2
        .value_kind:     hidden_remainder_z
      - .offset:         112
        .size:           8
        .value_kind:     hidden_global_offset_x
      - .offset:         120
        .size:           8
        .value_kind:     hidden_global_offset_y
      - .offset:         128
        .size:           8
        .value_kind:     hidden_global_offset_z
      - .offset:         136
        .size:           2
        .value_kind:     hidden_grid_dims
    .group_segment_fixed_size: 8704
    .kernarg_segment_align: 8
    .kernarg_segment_size: 328
    .language:       OpenCL C
    .language_version:
      - 2
      - 0
    .max_flat_workgroup_size: 1024
    .name:           _ZN4vllm15gptq_rdna3_wmma30gemm_q4_wmma_kernel_128x64_k32I14__hip_bfloat16EEvPKT_PKjS7_S5_PS3_iiiiiPKi
    .private_segment_fixed_size: 0
    .sgpr_count:     31
    .sgpr_spill_count: 0
    .symbol:         _ZN4vllm15gptq_rdna3_wmma30gemm_q4_wmma_kernel_128x64_k32I14__hip_bfloat16EEvPKT_PKjS7_S5_PS3_iiiiiPKi.kd
    .uniform_work_group_size: 1
    .uses_dynamic_stack: false
    .vgpr_count:     127
    .vgpr_spill_count: 0
    .wavefront_size: 32
    .workgroup_processor_mode: 1
  - .args:
      - .actual_access:  read_only
        .address_space:  global
        .offset:         0
        .size:           8
        .value_kind:     global_buffer
      - .actual_access:  read_only
        .address_space:  global
        .offset:         8
        .size:           8
        .value_kind:     global_buffer
      - .actual_access:  read_only
        .address_space:  global
        .offset:         16
        .size:           8
        .value_kind:     global_buffer
      - .actual_access:  read_only
        .address_space:  global
        .offset:         24
        .size:           8
        .value_kind:     global_buffer
      - .address_space:  global
        .offset:         32
        .size:           8
        .value_kind:     global_buffer
      - .offset:         40
        .size:           4
        .value_kind:     by_value
      - .offset:         44
        .size:           4
        .value_kind:     by_value
      - .offset:         48
        .size:           4
        .value_kind:     by_value
      - .offset:         52
        .size:           4
        .value_kind:     by_value
      - .offset:         56
        .size:           4
        .value_kind:     by_value
      - .actual_access:  read_only
        .address_space:  global
        .offset:         64
        .size:           8
        .value_kind:     global_buffer
      - .offset:         72
        .size:           4
        .value_kind:     hidden_block_count_x
      - .offset:         76
        .size:           4
        .value_kind:     hidden_block_count_y
      - .offset:         80
        .size:           4
        .value_kind:     hidden_block_count_z
      - .offset:         84
        .size:           2
        .value_kind:     hidden_group_size_x
      - .offset:         86
        .size:           2
        .value_kind:     hidden_group_size_y
      - .offset:         88
        .size:           2
        .value_kind:     hidden_group_size_z
      - .offset:         90
        .size:           2
        .value_kind:     hidden_remainder_x
      - .offset:         92
        .size:           2
        .value_kind:     hidden_remainder_y
      - .offset:         94
        .size:           2
        .value_kind:     hidden_remainder_z
      - .offset:         112
        .size:           8
        .value_kind:     hidden_global_offset_x
      - .offset:         120
        .size:           8
        .value_kind:     hidden_global_offset_y
      - .offset:         128
        .size:           8
        .value_kind:     hidden_global_offset_z
      - .offset:         136
        .size:           2
        .value_kind:     hidden_grid_dims
    .group_segment_fixed_size: 4096
    .kernarg_segment_align: 8
    .kernarg_segment_size: 328
    .language:       OpenCL C
    .language_version:
      - 2
      - 0
    .max_flat_workgroup_size: 1024
    .name:           _ZN4vllm15gptq_rdna3_wmma30gemm_q4_wmma_kernel_128x64_k16I14__hip_bfloat16EEvPKT_PKjS7_S5_PS3_iiiiiPKi
    .private_segment_fixed_size: 0
    .sgpr_count:     31
    .sgpr_spill_count: 0
    .symbol:         _ZN4vllm15gptq_rdna3_wmma30gemm_q4_wmma_kernel_128x64_k16I14__hip_bfloat16EEvPKT_PKjS7_S5_PS3_iiiiiPKi.kd
    .uniform_work_group_size: 1
    .uses_dynamic_stack: false
    .vgpr_count:     86
    .vgpr_spill_count: 0
    .wavefront_size: 32
    .workgroup_processor_mode: 1
  - .args:
      - .actual_access:  read_only
        .address_space:  global
        .offset:         0
        .size:           8
        .value_kind:     global_buffer
      - .actual_access:  read_only
        .address_space:  global
        .offset:         8
        .size:           8
        .value_kind:     global_buffer
      - .actual_access:  read_only
        .address_space:  global
        .offset:         16
        .size:           8
        .value_kind:     global_buffer
      - .actual_access:  read_only
        .address_space:  global
        .offset:         24
        .size:           8
        .value_kind:     global_buffer
      - .address_space:  global
        .offset:         32
        .size:           8
        .value_kind:     global_buffer
      - .offset:         40
        .size:           4
        .value_kind:     by_value
      - .offset:         44
        .size:           4
        .value_kind:     by_value
      - .offset:         48
        .size:           4
        .value_kind:     by_value
      - .offset:         52
        .size:           4
        .value_kind:     by_value
      - .offset:         56
        .size:           4
        .value_kind:     by_value
      - .actual_access:  read_only
        .address_space:  global
        .offset:         64
        .size:           8
        .value_kind:     global_buffer
      - .offset:         72
        .size:           4
        .value_kind:     hidden_block_count_x
      - .offset:         76
        .size:           4
        .value_kind:     hidden_block_count_y
      - .offset:         80
        .size:           4
        .value_kind:     hidden_block_count_z
      - .offset:         84
        .size:           2
        .value_kind:     hidden_group_size_x
      - .offset:         86
        .size:           2
        .value_kind:     hidden_group_size_y
      - .offset:         88
        .size:           2
        .value_kind:     hidden_group_size_z
      - .offset:         90
        .size:           2
        .value_kind:     hidden_remainder_x
      - .offset:         92
        .size:           2
        .value_kind:     hidden_remainder_y
      - .offset:         94
        .size:           2
        .value_kind:     hidden_remainder_z
      - .offset:         112
        .size:           8
        .value_kind:     hidden_global_offset_x
      - .offset:         120
        .size:           8
        .value_kind:     hidden_global_offset_y
      - .offset:         128
        .size:           8
        .value_kind:     hidden_global_offset_z
      - .offset:         136
        .size:           2
        .value_kind:     hidden_grid_dims
    .group_segment_fixed_size: 4096
    .kernarg_segment_align: 8
    .kernarg_segment_size: 328
    .language:       OpenCL C
    .language_version:
      - 2
      - 0
    .max_flat_workgroup_size: 1024
    .name:           _ZN4vllm15gptq_rdna3_wmma28gemm_q4_wmma_kernel_64x64_4wI14__hip_bfloat16EEvPKT_PKjS7_S5_PS3_iiiiiPKi
    .private_segment_fixed_size: 0
    .sgpr_count:     52
    .sgpr_spill_count: 0
    .symbol:         _ZN4vllm15gptq_rdna3_wmma28gemm_q4_wmma_kernel_64x64_4wI14__hip_bfloat16EEvPKT_PKjS7_S5_PS3_iiiiiPKi.kd
    .uniform_work_group_size: 1
    .uses_dynamic_stack: false
    .vgpr_count:     113
    .vgpr_spill_count: 0
    .wavefront_size: 32
    .workgroup_processor_mode: 1
amdhsa.target:   amdgcn-amd-amdhsa--gfx1100
amdhsa.version:
  - 1
  - 2
...

	.end_amdgpu_metadata
